;; amdgpu-corpus repo=zjin-lcf/HeCBench kind=compiled arch=gfx1100 opt=O3
	.text
	.amdgcn_target "amdgcn-amd-amdhsa--gfx1100"
	.amdhsa_code_object_version 6
	.p2align	2                               ; -- Begin function _Z12cuda_rys_pbfPKdS0_S0_S0_
	.type	_Z12cuda_rys_pbfPKdS0_S0_S0_,@function
_Z12cuda_rys_pbfPKdS0_S0_S0_:           ; @_Z12cuda_rys_pbfPKdS0_S0_S0_
; %bb.0:
	s_waitcnt vmcnt(0) expcnt(0) lgkmcnt(0)
	s_or_saveexec_b32 s0, -1
	scratch_store_b32 off, v40, s32 offset:228 ; 4-byte Folded Spill
	s_mov_b32 exec_lo, s0
	v_writelane_b32 v40, s34, 0
	v_writelane_b32 v40, s35, 1
	v_writelane_b32 v40, s36, 2
	v_writelane_b32 v40, s37, 3
	v_writelane_b32 v40, s38, 4
	v_writelane_b32 v40, s39, 5
	v_writelane_b32 v40, s40, 6
	v_writelane_b32 v40, s41, 7
	v_writelane_b32 v40, s42, 8
	v_writelane_b32 v40, s43, 9
	v_writelane_b32 v40, s44, 10
	v_writelane_b32 v40, s45, 11
	v_writelane_b32 v40, s46, 12
	v_writelane_b32 v40, s47, 13
	v_writelane_b32 v40, s48, 14
	v_writelane_b32 v40, s49, 15
	v_writelane_b32 v40, s50, 16
	v_writelane_b32 v40, s51, 17
	v_writelane_b32 v40, s52, 18
	v_writelane_b32 v40, s30, 19
	v_writelane_b32 v40, s31, 20
	s_clause 0x2
	flat_load_b128 v[8:11], v[0:1] offset:16
	flat_load_b128 v[12:15], v[0:1] offset:32
	;; [unrolled: 1-line block ×6, first 2 shown]
	s_clause 0x1
	flat_load_b128 v[16:19], v[2:3]
	flat_load_b128 v[20:23], v[2:3] offset:16
	s_clause 0x1
	flat_load_b128 v[51:54], v[6:7]
	flat_load_b128 v[65:68], v[6:7] offset:16
	flat_load_b128 v[112:115], v[0:1]
	s_clause 0x1
	flat_load_b128 v[116:119], v[4:5]
	flat_load_b128 v[128:131], v[4:5] offset:16
	flat_load_b128 v[0:3], v[2:3] offset:32
	;; [unrolled: 1-line block ×4, first 2 shown]
	s_waitcnt vmcnt(15) lgkmcnt(15)
	v_cvt_i32_f64_e32 v48, v[10:11]
	s_waitcnt vmcnt(14) lgkmcnt(14)
	v_cvt_i32_f64_e32 v49, v[12:13]
	s_waitcnt vmcnt(13) lgkmcnt(13)
	v_cvt_f32_f64_e32 v99, v[24:25]
	s_waitcnt vmcnt(12) lgkmcnt(12)
	v_cvt_f32_f64_e32 v100, v[28:29]
	s_waitcnt vmcnt(11) lgkmcnt(11)
	v_cvt_f32_f64_e32 v101, v[32:33]
	s_waitcnt vmcnt(10) lgkmcnt(10)
	v_cvt_f32_f64_e32 v102, v[36:37]
	s_waitcnt vmcnt(9) lgkmcnt(9)
	v_cvt_f32_f64_e32 v97, v[16:17]
	s_waitcnt vmcnt(8) lgkmcnt(8)
	v_cvt_f32_f64_e32 v80, v[20:21]
	s_waitcnt vmcnt(7) lgkmcnt(7)
	v_cvt_f32_f64_e32 v98, v[51:52]
	s_waitcnt vmcnt(6) lgkmcnt(6)
	v_cvt_f32_f64_e32 v71, v[65:66]
	v_cvt_f32_f64_e32 v66, v[8:9]
	s_waitcnt vmcnt(4) lgkmcnt(4)
	v_cvt_f32_f64_e32 v87, v[116:117]
	v_cvt_f32_f64_e32 v81, v[18:19]
	v_cvt_i32_f64_e32 v50, v[14:15]
	v_cvt_f32_f64_e32 v82, v[53:54]
	v_cvt_i32_f64_e32 v28, v[22:23]
	v_cvt_f32_f64_e32 v86, v[112:113]
	v_cvt_f32_f64_e32 v70, v[114:115]
	s_waitcnt vmcnt(3) lgkmcnt(3)
	v_cvt_f32_f64_e32 v65, v[128:129]
	s_waitcnt vmcnt(2) lgkmcnt(2)
	v_cvt_i32_f64_e32 v29, v[0:1]
	v_cvt_i32_f64_e32 v32, v[2:3]
	v_cvt_f32_f64_e32 v69, v[118:119]
	v_cvt_i32_f64_e32 v33, v[130:131]
	s_waitcnt vmcnt(1) lgkmcnt(1)
	v_cvt_i32_f64_e32 v36, v[132:133]
	v_cvt_i32_f64_e32 v37, v[134:135]
	v_cvt_i32_f64_e32 v51, v[67:68]
	s_waitcnt vmcnt(0) lgkmcnt(0)
	v_cvt_i32_f64_e32 v52, v[4:5]
	v_cvt_i32_f64_e32 v53, v[6:7]
	v_add_nc_u32_e32 v0, v49, v48
	v_dual_add_f32 v67, v99, v100 :: v_dual_add_f32 v68, v101, v102
	v_mul_f32_e32 v1, v97, v100
	v_dual_mul_f32 v3, v80, v100 :: v_dual_mul_f32 v4, v98, v102
	v_mul_f32_e32 v6, v71, v102
	s_delay_alu instid0(VALU_DEP_4) | instskip(NEXT) | instid1(VALU_DEP_3)
	v_mul_f32_e32 v103, v67, v68
	v_dual_fmac_f32 v3, v66, v99 :: v_dual_fmac_f32 v4, v87, v101
	v_dual_mul_f32 v2, v81, v100 :: v_dual_mul_f32 v5, v82, v102
	v_fmac_f32_e32 v1, v86, v99
	v_add3_u32 v0, v0, v50, v28
	s_delay_alu instid0(VALU_DEP_4) | instskip(NEXT) | instid1(VALU_DEP_4)
	v_div_scale_f32 v13, null, v68, v68, v4
	v_dual_fmac_f32 v2, v70, v99 :: v_dual_fmac_f32 v5, v69, v101
	v_fmac_f32_e32 v6, v65, v101
	s_delay_alu instid0(VALU_DEP_3) | instskip(SKIP_4) | instid1(VALU_DEP_4)
	v_rcp_f32_e32 v23, v13
	v_add3_u32 v0, v0, v29, v32
	v_div_scale_f32 v7, null, v67, v67, v1
	v_div_scale_f32 v11, null, v67, v67, v3
	;; [unrolled: 1-line block ×3, first 2 shown]
	v_add3_u32 v0, v0, v33, v36
	s_delay_alu instid0(VALU_DEP_4) | instskip(NEXT) | instid1(TRANS32_DEP_2)
	v_rcp_f32_e32 v20, v7
	v_fma_f32 v85, -v13, v23, 1.0
	v_add_f32_e32 v54, v67, v68
	v_rcp_f32_e32 v22, v11
	v_div_scale_f32 v15, null, v68, v68, v5
	s_delay_alu instid0(VALU_DEP_3) | instskip(NEXT) | instid1(VALU_DEP_3)
	v_fmac_f32_e32 v23, v85, v23
	v_div_scale_f32 v19, null, v54, v54, v103
	v_rcp_f32_e32 v21, v9
	v_div_scale_f32 v17, null, v68, v68, v6
	v_add3_u32 v0, v0, v37, v51
	s_delay_alu instid0(VALU_DEP_3) | instskip(SKIP_1) | instid1(VALU_DEP_2)
	v_rcp_f32_e32 v55, v19
	v_rcp_f32_e32 v24, v15
	;; [unrolled: 1-line block ×3, first 2 shown]
	v_fma_f32 v84, -v11, v22, 1.0
	v_add3_u32 v114, v0, v52, v53
	v_fma_f32 v0, -v7, v20, 1.0
	v_fma_f32 v83, -v9, v21, 1.0
	v_div_scale_f32 v8, vcc_lo, v1, v67, v1
	v_div_scale_f32 v12, s1, v3, v67, v3
	s_delay_alu instid0(TRANS32_DEP_3) | instskip(NEXT) | instid1(VALU_DEP_4)
	v_fma_f32 v113, -v19, v55, 1.0
	v_dual_fmac_f32 v20, v0, v20 :: v_dual_fmac_f32 v21, v83, v21
	v_fmac_f32_e32 v22, v84, v22
	v_div_scale_f32 v10, s0, v2, v67, v2
	s_delay_alu instid0(VALU_DEP_4) | instskip(SKIP_4) | instid1(VALU_DEP_3)
	v_fmac_f32_e32 v55, v113, v55
	v_fma_f32 v96, -v15, v24, 1.0
	v_div_scale_f32 v14, s2, v4, v68, v4
	v_div_scale_f32 v18, s4, v6, v68, v6
	v_fma_f32 v112, -v17, v25, 1.0
	v_dual_mul_f32 v0, v8, v20 :: v_dual_mul_f32 v85, v14, v23
	v_mul_f32_e32 v84, v12, v22
	v_dual_fmac_f32 v24, v96, v24 :: v_dual_mul_f32 v83, v10, v21
	v_div_scale_f32 v16, s3, v5, v68, v5
	s_delay_alu instid0(VALU_DEP_3)
	v_fma_f32 v118, -v11, v84, v12
	v_fmac_f32_e32 v25, v112, v25
	v_fma_f32 v112, -v7, v0, v8
	v_fma_f32 v117, -v9, v83, v10
	v_mul_f32_e32 v96, v16, v24
	v_fma_f32 v119, -v13, v85, v14
	v_fmac_f32_e32 v84, v118, v22
	s_delay_alu instid0(VALU_DEP_4) | instskip(NEXT) | instid1(VALU_DEP_4)
	v_dual_fmac_f32 v0, v112, v20 :: v_dual_fmac_f32 v83, v117, v21
	v_fma_f32 v128, -v15, v96, v16
	s_delay_alu instid0(VALU_DEP_4) | instskip(SKIP_1) | instid1(VALU_DEP_4)
	v_fmac_f32_e32 v85, v119, v23
	v_mul_f32_e32 v113, v18, v25
	v_fma_f32 v7, -v7, v0, v8
	v_fma_f32 v8, -v9, v83, v10
	v_fmac_f32_e32 v96, v128, v24
	v_fma_f32 v9, -v11, v84, v12
	v_fma_f32 v10, -v13, v85, v14
	v_div_fmas_f32 v0, v7, v20, v0
	s_mov_b32 vcc_lo, s0
	v_div_scale_f32 v64, s5, v103, v54, v103
	v_div_fmas_f32 v7, v8, v21, v83
	s_mov_b32 vcc_lo, s1
	v_fma_f32 v129, -v17, v113, v18
	v_fma_f32 v11, -v15, v96, v16
	v_div_fmas_f32 v8, v9, v22, v84
	s_mov_b32 vcc_lo, s2
	s_delay_alu instid0(VALU_DEP_3)
	v_dual_mul_f32 v116, v64, v55 :: v_dual_fmac_f32 v113, v129, v25
	v_div_fmas_f32 v9, v10, v23, v85
	s_mov_b32 vcc_lo, s3
	v_div_fixup_f32 v85, v7, v67, v2
	v_div_fmas_f32 v10, v11, v24, v96
	v_fma_f32 v130, -v19, v116, v64
	v_fma_f32 v11, -v17, v113, v18
	s_mov_b32 vcc_lo, s4
	v_div_fixup_f32 v112, v0, v67, v1
	v_div_fixup_f32 v96, v10, v68, v5
	v_fmac_f32_e32 v116, v130, v55
	v_div_fmas_f32 v0, v11, v25, v113
	v_div_fixup_f32 v113, v9, v68, v4
	v_div_fixup_f32 v83, v8, v67, v3
	v_sub_f32_e32 v1, v85, v96
	v_fma_f32 v2, -v19, v116, v64
	v_div_fixup_f32 v84, v0, v68, v6
	v_sub_f32_e32 v0, v112, v113
	s_mov_b32 vcc_lo, s5
	v_mul_f32_e32 v1, v1, v1
	v_lshrrev_b32_e32 v115, 31, v114
	v_sub_f32_e32 v3, v83, v84
	v_div_fmas_f32 v2, v2, v55, v116
	s_mov_b32 s4, 0
	s_delay_alu instid0(VALU_DEP_3) | instskip(SKIP_1) | instid1(VALU_DEP_2)
	v_dual_fmac_f32 v1, v0, v0 :: v_dual_add_nc_u32 v0, v114, v115
                                        ; implicit-def: $vgpr23
                                        ; implicit-def: $vgpr116
                                        ; implicit-def: $vgpr117
	s_mov_b32 s0, exec_lo
	v_div_fixup_f32 v55, v2, v54, v103
	s_delay_alu instid0(VALU_DEP_2) | instskip(NEXT) | instid1(VALU_DEP_3)
	v_fmac_f32_e32 v1, v3, v3
	v_ashrrev_i32_e32 v64, 1, v0
	s_delay_alu instid0(VALU_DEP_2)
	v_mul_f32_e32 v115, v55, v1
	v_cmpx_lt_i32_e32 5, v114
                                        ; implicit-def: $vgpr0_vgpr1_vgpr2_vgpr3_vgpr4_vgpr5_vgpr6
	s_xor_b32 s5, exec_lo, s0
                                        ; implicit-def: $vgpr6_vgpr7_vgpr8_vgpr9_vgpr10_vgpr11_vgpr12
                                        ; implicit-def: $vgpr11_vgpr12_vgpr13_vgpr14_vgpr15_vgpr16_vgpr17
                                        ; implicit-def: $vgpr15_vgpr16_vgpr17_vgpr18_vgpr19_vgpr20_vgpr21
	s_cbranch_execz .LBB0_187
; %bb.1:
	s_mov_b32 s6, 0
	s_mov_b32 s0, 0
                                        ; implicit-def: $vgpr23
                                        ; implicit-def: $vgpr116
                                        ; implicit-def: $vgpr117
	s_mov_b32 s1, exec_lo
	v_cmpx_lt_i32_e32 3, v64
                                        ; implicit-def: $vgpr0_vgpr1_vgpr2_vgpr3_vgpr4_vgpr5_vgpr6
	s_xor_b32 s7, exec_lo, s1
                                        ; implicit-def: $vgpr6_vgpr7_vgpr8_vgpr9_vgpr10_vgpr11_vgpr12
                                        ; implicit-def: $vgpr11_vgpr12_vgpr13_vgpr14_vgpr15_vgpr16_vgpr17
                                        ; implicit-def: $vgpr15_vgpr16_vgpr17_vgpr18_vgpr19_vgpr20_vgpr21
	s_cbranch_execz .LBB0_326
; %bb.2:
	s_mov_b32 s1, -1
	s_mov_b32 s8, exec_lo
                                        ; implicit-def: $vgpr23
                                        ; implicit-def: $vgpr116
                                        ; implicit-def: $vgpr117
	v_cmpx_eq_u32_e32 4, v64
                                        ; implicit-def: $vgpr0_vgpr1_vgpr2_vgpr3_vgpr4_vgpr5_vgpr6
                                        ; implicit-def: $vgpr6_vgpr7_vgpr8_vgpr9_vgpr10_vgpr11_vgpr12
                                        ; implicit-def: $vgpr11_vgpr12_vgpr13_vgpr14_vgpr15_vgpr16_vgpr17
                                        ; implicit-def: $vgpr15_vgpr16_vgpr17_vgpr18_vgpr19_vgpr20_vgpr21
	s_cbranch_execz .LBB0_40
; %bb.3:
                                        ; implicit-def: $vgpr0
                                        ; implicit-def: $vgpr116
                                        ; implicit-def: $vgpr4
	s_mov_b32 s0, exec_lo
	v_cmpx_ngt_f32_e32 0x34a10fb0, v115
                                        ; implicit-def: $vgpr6_vgpr7_vgpr8_vgpr9_vgpr10_vgpr11_vgpr12
	s_xor_b32 s9, exec_lo, s0
                                        ; implicit-def: $vgpr11_vgpr12_vgpr13_vgpr14_vgpr15_vgpr16_vgpr17
                                        ; implicit-def: $vgpr15_vgpr16_vgpr17_vgpr18_vgpr19_vgpr20_vgpr21
                                        ; implicit-def: $vgpr19_vgpr20_vgpr21_vgpr22_vgpr23_vgpr24_vgpr25
	s_cbranch_execz .LBB0_37
; %bb.4:
                                        ; implicit-def: $vgpr0
                                        ; implicit-def: $vgpr116
                                        ; implicit-def: $vgpr4
	s_mov_b32 s0, exec_lo
	v_cmpx_ngt_f32_e32 1.0, v115
                                        ; implicit-def: $vgpr6_vgpr7_vgpr8_vgpr9_vgpr10_vgpr11_vgpr12
	s_xor_b32 s10, exec_lo, s0
                                        ; implicit-def: $vgpr11_vgpr12_vgpr13_vgpr14_vgpr15_vgpr16_vgpr17
                                        ; implicit-def: $vgpr15_vgpr16_vgpr17_vgpr18_vgpr19_vgpr20_vgpr21
                                        ; implicit-def: $vgpr19_vgpr20_vgpr21_vgpr22_vgpr23_vgpr24_vgpr25
	s_cbranch_execz .LBB0_34
; %bb.5:
                                        ; implicit-def: $vgpr0
                                        ; implicit-def: $vgpr116
                                        ; implicit-def: $vgpr4
	s_mov_b32 s0, exec_lo
	v_cmpx_ngt_f32_e32 0x40a00000, v115
                                        ; implicit-def: $vgpr6_vgpr7_vgpr8_vgpr9_vgpr10_vgpr11_vgpr12
	s_xor_b32 s11, exec_lo, s0
                                        ; implicit-def: $vgpr11_vgpr12_vgpr13_vgpr14_vgpr15_vgpr16_vgpr17
                                        ; implicit-def: $vgpr15_vgpr16_vgpr17_vgpr18_vgpr19_vgpr20_vgpr21
                                        ; implicit-def: $vgpr19_vgpr20_vgpr21_vgpr22_vgpr23_vgpr24_vgpr25
	s_cbranch_execz .LBB0_31
; %bb.6:
                                        ; implicit-def: $vgpr0
                                        ; implicit-def: $vgpr116
                                        ; implicit-def: $vgpr4
	s_mov_b32 s0, exec_lo
	v_cmpx_ngt_f32_e32 0x41200000, v115
	;; [unrolled: 12-line block ×6, first 2 shown]
                                        ; implicit-def: $vgpr6_vgpr7_vgpr8_vgpr9_vgpr10_vgpr11_vgpr12
	s_xor_b32 s16, exec_lo, s0
                                        ; implicit-def: $vgpr11_vgpr12_vgpr13_vgpr14_vgpr15_vgpr16_vgpr17
                                        ; implicit-def: $vgpr15_vgpr16_vgpr17_vgpr18_vgpr19_vgpr20_vgpr21
                                        ; implicit-def: $vgpr19_vgpr20_vgpr21_vgpr22_vgpr23_vgpr24_vgpr25
	s_cbranch_execz .LBB0_16
; %bb.11:
	v_div_scale_f32 v0, null, v115, v115, 0x3f490fdb
	v_div_scale_f32 v3, vcc_lo, 0x3f490fdb, v115, 0x3f490fdb
                                        ; implicit-def: $vgpr116
	s_delay_alu instid0(VALU_DEP_2) | instskip(SKIP_2) | instid1(VALU_DEP_1)
	v_rcp_f32_e32 v1, v0
	s_waitcnt_depctr 0xfff
	v_fma_f32 v2, -v0, v1, 1.0
	v_fmac_f32_e32 v1, v2, v1
	s_delay_alu instid0(VALU_DEP_1) | instskip(NEXT) | instid1(VALU_DEP_1)
	v_mul_f32_e32 v2, v3, v1
	v_fma_f32 v4, -v0, v2, v3
	s_delay_alu instid0(VALU_DEP_1) | instskip(NEXT) | instid1(VALU_DEP_1)
	v_fmac_f32_e32 v2, v4, v1
	v_fma_f32 v0, -v0, v2, v3
	s_delay_alu instid0(VALU_DEP_1) | instskip(NEXT) | instid1(VALU_DEP_1)
	v_div_fmas_f32 v0, v0, v1, v2
	v_div_fixup_f32 v0, v0, v115, 0x3f490fdb
	s_delay_alu instid0(VALU_DEP_1) | instskip(SKIP_1) | instid1(VALU_DEP_2)
	v_mul_f32_e32 v1, 0x4f800000, v0
	v_cmp_gt_f32_e32 vcc_lo, 0xf800000, v0
	v_cndmask_b32_e32 v0, v0, v1, vcc_lo
	s_delay_alu instid0(VALU_DEP_1) | instskip(SKIP_3) | instid1(VALU_DEP_2)
	v_sqrt_f32_e32 v1, v0
	s_waitcnt_depctr 0xfff
	v_add_nc_u32_e32 v2, -1, v1
	v_add_nc_u32_e32 v3, 1, v1
	v_fma_f32 v4, -v2, v1, v0
	s_delay_alu instid0(VALU_DEP_2) | instskip(NEXT) | instid1(VALU_DEP_2)
	v_fma_f32 v5, -v3, v1, v0
	v_cmp_ge_f32_e64 s0, 0, v4
                                        ; implicit-def: $vgpr4
	s_delay_alu instid0(VALU_DEP_1) | instskip(NEXT) | instid1(VALU_DEP_3)
	v_cndmask_b32_e64 v1, v1, v2, s0
	v_cmp_lt_f32_e64 s0, 0, v5
	s_delay_alu instid0(VALU_DEP_1) | instskip(NEXT) | instid1(VALU_DEP_1)
	v_cndmask_b32_e64 v1, v1, v3, s0
	v_mul_f32_e32 v2, 0x37800000, v1
	s_delay_alu instid0(VALU_DEP_1) | instskip(SKIP_1) | instid1(VALU_DEP_1)
	v_cndmask_b32_e32 v1, v1, v2, vcc_lo
	v_cmp_class_f32_e64 s0, v0, 0x260
	v_cndmask_b32_e64 v5, v1, v0, s0
                                        ; implicit-def: $vgpr0
	s_mov_b32 s0, exec_lo
	v_cmpx_ngt_f32_e32 0x426c0000, v115
                                        ; implicit-def: $vgpr6_vgpr7_vgpr8_vgpr9_vgpr10_vgpr11_vgpr12
	s_xor_b32 s4, exec_lo, s0
                                        ; implicit-def: $vgpr11_vgpr12_vgpr13_vgpr14_vgpr15_vgpr16_vgpr17
                                        ; implicit-def: $vgpr15_vgpr16_vgpr17_vgpr18_vgpr19_vgpr20_vgpr21
                                        ; implicit-def: $vgpr19_vgpr20_vgpr21_vgpr22_vgpr23_vgpr24_vgpr25
	s_cbranch_execz .LBB0_13
; %bb.12:
	v_add_f32_e32 v1, 0xbf898b3f, v115
	v_add_f32_e32 v10, 0xc13cea40, v115
	;; [unrolled: 1-line block ×3, first 2 shown]
	v_mul_f32_e32 v116, 0x3710a439, v5
	s_delay_alu instid0(VALU_DEP_4) | instskip(NEXT) | instid1(VALU_DEP_3)
	v_div_scale_f32 v4, null, v1, v1, 0x3f898b3f
	v_div_scale_f32 v15, null, v8, v8, 0x40cd4577
	s_delay_alu instid0(VALU_DEP_2) | instskip(NEXT) | instid1(VALU_DEP_1)
	v_rcp_f32_e32 v9, v4
	v_rcp_f32_e32 v17, v15
	s_waitcnt_depctr 0xfff
	v_fma_f32 v16, -v4, v9, 1.0
	v_add_f32_e32 v0, 0xbdf0ce7a, v115
	v_fma_f32 v23, -v15, v17, 1.0
	s_delay_alu instid0(VALU_DEP_3) | instskip(NEXT) | instid1(VALU_DEP_3)
	v_fmac_f32_e32 v9, v16, v9
	v_div_scale_f32 v2, null, v0, v0, 0x3df0ce7a
	v_div_scale_f32 v11, vcc_lo, 0x3df0ce7a, v0, 0x3df0ce7a
	s_delay_alu instid0(VALU_DEP_4) | instskip(NEXT) | instid1(VALU_DEP_3)
	v_fmac_f32_e32 v17, v23, v17
	v_rcp_f32_e32 v6, v2
	v_div_scale_f32 v22, s2, 0x40cd4577, v8, 0x40cd4577
	s_waitcnt_depctr 0xfff
	v_fma_f32 v13, -v2, v6, 1.0
	s_delay_alu instid0(VALU_DEP_1) | instskip(SKIP_2) | instid1(VALU_DEP_3)
	v_dual_fmac_f32 v6, v13, v6 :: v_dual_add_f32 v3, 0xc0458000, v115
	v_div_scale_f32 v13, null, v10, v10, 0x413cea40
	v_div_scale_f32 v14, s0, 0x3f898b3f, v1, 0x3f898b3f
	v_mul_f32_e32 v16, v11, v6
	s_delay_alu instid0(VALU_DEP_4) | instskip(NEXT) | instid1(VALU_DEP_4)
	v_div_scale_f32 v7, null, v3, v3, 0x40458000
	v_rcp_f32_e32 v20, v13
	v_div_scale_f32 v19, s1, 0x40458000, v3, 0x40458000
	s_delay_alu instid0(VALU_DEP_2) | instskip(SKIP_1) | instid1(VALU_DEP_1)
	v_rcp_f32_e32 v12, v7
	v_fma_f32 v21, -v2, v16, v11
	v_fmac_f32_e32 v16, v21, v6
	s_waitcnt_depctr 0xfff
	v_fma_f32 v21, -v13, v20, 1.0
	v_fma_f32 v18, -v7, v12, 1.0
	v_fma_f32 v2, -v2, v16, v11
	s_delay_alu instid0(VALU_DEP_3) | instskip(SKIP_1) | instid1(VALU_DEP_4)
	v_fmac_f32_e32 v20, v21, v20
	v_div_scale_f32 v11, s3, 0x413cea40, v10, 0x413cea40
	v_fmac_f32_e32 v12, v18, v12
	v_mul_f32_e32 v18, v14, v9
	v_div_fmas_f32 v2, v2, v6, v16
	s_delay_alu instid0(VALU_DEP_4) | instskip(SKIP_4) | instid1(VALU_DEP_3)
	v_mul_f32_e32 v16, v11, v20
	s_mov_b32 vcc_lo, s0
	v_mul_f32_e32 v6, v22, v17
	v_fma_f32 v25, -v4, v18, v14
	v_div_fixup_f32 v0, v2, v0, 0x3df0ce7a
	v_fma_f32 v2, -v15, v6, v22
	s_delay_alu instid0(VALU_DEP_3) | instskip(NEXT) | instid1(VALU_DEP_2)
	v_fmac_f32_e32 v18, v25, v9
	v_fmac_f32_e32 v6, v2, v17
	s_delay_alu instid0(VALU_DEP_2) | instskip(SKIP_1) | instid1(VALU_DEP_2)
	v_fma_f32 v4, -v4, v18, v14
	v_fma_f32 v14, -v13, v16, v11
	v_div_fmas_f32 v4, v4, v9, v18
	s_delay_alu instid0(VALU_DEP_2) | instskip(SKIP_1) | instid1(VALU_DEP_1)
	v_fmac_f32_e32 v16, v14, v20
	s_mov_b32 vcc_lo, s1
	v_fma_f32 v9, -v13, v16, v11
	v_fmamk_f32 v11, v5, 0xbe8abc3d, v5
	s_delay_alu instid0(VALU_DEP_1) | instskip(NEXT) | instid1(VALU_DEP_1)
	v_dual_fmamk_f32 v11, v5, 0xbd1c8fe4, v11 :: v_dual_mul_f32 v24, v19, v12
	v_fma_f32 v23, -v7, v24, v19
	s_delay_alu instid0(VALU_DEP_1) | instskip(NEXT) | instid1(VALU_DEP_1)
	v_fmac_f32_e32 v24, v23, v12
	v_fma_f32 v7, -v7, v24, v19
	s_delay_alu instid0(VALU_DEP_1) | instskip(SKIP_2) | instid1(VALU_DEP_2)
	v_div_fmas_f32 v2, v7, v12, v24
	v_fma_f32 v7, -v15, v6, v22
	s_mov_b32 vcc_lo, s2
	v_div_fixup_f32 v13, v2, v3, 0x40458000
	s_delay_alu instid0(VALU_DEP_2)
	v_div_fmas_f32 v6, v7, v17, v6
	s_mov_b32 vcc_lo, s3
	v_div_fixup_f32 v7, v4, v1, 0x3f898b3f
	v_fmamk_f32 v1, v5, 0xbac6b947, v11
	v_div_fmas_f32 v9, v9, v20, v16
	v_div_fixup_f32 v18, v6, v8, 0x40cd4577
	v_mul_f32_e32 v2, 0x3e8abc3d, v5
	v_mul_f32_e32 v3, 0x3d1c8fe4, v5
	;; [unrolled: 1-line block ×3, first 2 shown]
	v_div_fixup_f32 v23, v9, v10, 0x413cea40
	v_fmamk_f32 v1, v5, 0xb710a439, v1
                                        ; implicit-def: $vgpr5
.LBB0_13:
	s_and_not1_saveexec_b32 s17, s4
	s_cbranch_execz .LBB0_15
; %bb.14:
	v_frexp_mant_f32_e32 v0, v115
	s_mov_b32 s0, 0x3e76c4e1
	s_mov_b32 s1, 0xbe6a5aca
	;; [unrolled: 1-line block ×4, first 2 shown]
	v_cmp_gt_f32_e32 vcc_lo, 0x3f2aaaab, v0
	s_mov_b32 s2, 0xbf31eeff
	s_mov_b32 s4, 0xc055bca2
	;; [unrolled: 1-line block ×4, first 2 shown]
	v_cndmask_b32_e64 v1, 1.0, 2.0, vcc_lo
	s_mov_b32 s21, 0x37afc644
	s_delay_alu instid0(VALU_DEP_1) | instskip(NEXT) | instid1(VALU_DEP_1)
	v_mul_f32_e32 v0, v0, v1
	v_add_f32_e32 v3, -1.0, v0
	v_add_f32_e32 v1, 1.0, v0
	s_delay_alu instid0(VALU_DEP_1) | instskip(SKIP_2) | instid1(VALU_DEP_1)
	v_rcp_f32_e32 v2, v1
	s_waitcnt_depctr 0xfff
	v_mul_f32_e32 v4, v3, v2
	v_dual_add_f32 v6, -1.0, v1 :: v_dual_mul_f32 v7, v1, v4
	s_delay_alu instid0(VALU_DEP_1) | instskip(NEXT) | instid1(VALU_DEP_2)
	v_sub_f32_e32 v0, v0, v6
	v_fma_f32 v1, v4, v1, -v7
	s_delay_alu instid0(VALU_DEP_1) | instskip(NEXT) | instid1(VALU_DEP_1)
	v_fmac_f32_e32 v1, v4, v0
	v_add_f32_e32 v0, v7, v1
	s_delay_alu instid0(VALU_DEP_1) | instskip(NEXT) | instid1(VALU_DEP_1)
	v_dual_sub_f32 v6, v3, v0 :: v_dual_sub_f32 v7, v0, v7
	v_sub_f32_e32 v1, v7, v1
	s_delay_alu instid0(VALU_DEP_2) | instskip(NEXT) | instid1(VALU_DEP_1)
	v_sub_f32_e32 v3, v3, v6
	v_sub_f32_e32 v0, v3, v0
	s_delay_alu instid0(VALU_DEP_1) | instskip(NEXT) | instid1(VALU_DEP_1)
	v_add_f32_e32 v0, v1, v0
	v_add_f32_e32 v0, v6, v0
	s_delay_alu instid0(VALU_DEP_1) | instskip(NEXT) | instid1(VALU_DEP_1)
	v_mul_f32_e32 v0, v2, v0
	v_add_f32_e32 v2, v4, v0
	s_delay_alu instid0(VALU_DEP_1) | instskip(NEXT) | instid1(VALU_DEP_1)
	v_sub_f32_e32 v1, v2, v4
	v_dual_mul_f32 v3, v2, v2 :: v_dual_sub_f32 v4, v0, v1
	s_delay_alu instid0(VALU_DEP_1) | instskip(NEXT) | instid1(VALU_DEP_2)
	v_fma_f32 v6, v2, v2, -v3
	v_add_f32_e32 v0, v4, v4
	s_delay_alu instid0(VALU_DEP_1) | instskip(SKIP_1) | instid1(VALU_DEP_2)
	v_fmac_f32_e32 v6, v2, v0
	v_cvt_f64_f32_e32 v[0:1], v115
	v_add_f32_e32 v7, v3, v6
	s_delay_alu instid0(VALU_DEP_1) | instskip(SKIP_2) | instid1(VALU_DEP_1)
	v_fmaak_f32 v8, s0, v7, 0x3e91f4c4
	v_sub_f32_e32 v3, v7, v3
	s_mov_b32 s0, 0xbcc7afde
	v_dual_fmaak_f32 v8, v7, v8, 0x3ecccdef :: v_dual_sub_f32 v3, v6, v3
	v_mul_f32_e32 v11, v2, v7
	s_delay_alu instid0(VALU_DEP_2) | instskip(NEXT) | instid1(VALU_DEP_1)
	v_mul_f32_e32 v9, v7, v8
	v_fma_f32 v6, v7, v8, -v9
	s_delay_alu instid0(VALU_DEP_1) | instskip(NEXT) | instid1(VALU_DEP_1)
	v_fmac_f32_e32 v6, v3, v8
	v_add_f32_e32 v8, v9, v6
	v_frexp_exp_i32_f64_e32 v0, v[0:1]
	s_delay_alu instid0(VALU_DEP_2) | instskip(NEXT) | instid1(VALU_DEP_1)
	v_sub_f32_e32 v9, v8, v9
	v_sub_f32_e32 v1, v6, v9
	v_fma_f32 v9, v7, v2, -v11
	s_delay_alu instid0(VALU_DEP_2) | instskip(NEXT) | instid1(VALU_DEP_2)
	v_add_f32_e32 v1, 0x31739010, v1
	v_fmac_f32_e32 v9, v7, v4
	v_add_f32_e32 v10, 0x3f2aaaaa, v8
	v_ldexp_f32 v4, v4, 1
	s_delay_alu instid0(VALU_DEP_3) | instskip(NEXT) | instid1(VALU_DEP_3)
	v_fmac_f32_e32 v9, v3, v2
	v_add_f32_e32 v6, 0xbf2aaaaa, v10
	s_delay_alu instid0(VALU_DEP_1) | instskip(NEXT) | instid1(VALU_DEP_1)
	v_sub_f32_e32 v6, v8, v6
	v_add_f32_e32 v1, v1, v6
	s_delay_alu instid0(VALU_DEP_1) | instskip(NEXT) | instid1(VALU_DEP_1)
	v_add_f32_e32 v3, v10, v1
	v_dual_sub_f32 v7, v10, v3 :: v_dual_add_f32 v6, v11, v9
	v_subrev_co_ci_u32_e32 v0, vcc_lo, 0, v0, vcc_lo
	v_cmp_eq_f32_e32 vcc_lo, 1.0, v115
	s_delay_alu instid0(VALU_DEP_3) | instskip(NEXT) | instid1(VALU_DEP_4)
	v_add_f32_e32 v1, v1, v7
	v_mul_f32_e32 v8, v6, v3
	s_delay_alu instid0(VALU_DEP_4) | instskip(NEXT) | instid1(VALU_DEP_2)
	v_cvt_f32_i32_e32 v0, v0
	v_fma_f32 v7, v6, v3, -v8
	s_delay_alu instid0(VALU_DEP_1) | instskip(SKIP_2) | instid1(VALU_DEP_1)
	v_fmac_f32_e32 v7, v6, v1
	v_ldexp_f32 v1, v2, 1
	v_sub_f32_e32 v10, v6, v11
	v_sub_f32_e32 v9, v9, v10
	s_delay_alu instid0(VALU_DEP_1) | instskip(NEXT) | instid1(VALU_DEP_1)
	v_fmac_f32_e32 v7, v9, v3
	v_add_f32_e32 v2, v8, v7
	s_delay_alu instid0(VALU_DEP_1) | instskip(SKIP_1) | instid1(VALU_DEP_2)
	v_dual_sub_f32 v6, v2, v8 :: v_dual_add_f32 v3, v1, v2
	v_mul_f32_e32 v8, 0x3f317218, v0
	v_sub_f32_e32 v6, v7, v6
	s_delay_alu instid0(VALU_DEP_3) | instskip(NEXT) | instid1(VALU_DEP_3)
	v_sub_f32_e32 v1, v3, v1
	v_fma_f32 v7, 0x3f317218, v0, -v8
	s_delay_alu instid0(VALU_DEP_2) | instskip(NEXT) | instid1(VALU_DEP_2)
	v_dual_sub_f32 v1, v2, v1 :: v_dual_add_f32 v2, v4, v6
	v_fmamk_f32 v0, v0, 0xb102e308, v7
	v_cndmask_b32_e64 v4, 0x40400000, 1.0, vcc_lo
	s_delay_alu instid0(VALU_DEP_3) | instskip(NEXT) | instid1(VALU_DEP_3)
	v_dual_add_f32 v1, v2, v1 :: v_dual_mul_f32 v2, 0xbfb8aa3b, v115
	v_dual_add_f32 v7, v8, v0 :: v_dual_add_f32 v6, 0xbdf0ce7a, v115
	v_add_f32_e32 v15, 0xc13cea40, v115
	s_delay_alu instid0(VALU_DEP_3) | instskip(NEXT) | instid1(VALU_DEP_3)
	v_add_f32_e32 v9, v3, v1
	v_dual_add_f32 v11, 0xc0458000, v115 :: v_dual_sub_f32 v8, v7, v8
	v_rndne_f32_e32 v24, v2
	s_delay_alu instid0(VALU_DEP_4) | instskip(NEXT) | instid1(VALU_DEP_4)
	v_div_scale_f32 v129, null, v15, v15, 0x413cea40
	v_add_f32_e32 v12, v7, v9
	s_delay_alu instid0(VALU_DEP_4) | instskip(NEXT) | instid1(VALU_DEP_3)
	v_div_scale_f32 v25, null, v11, v11, 0x40458000
	v_rcp_f32_e32 v135, v129
	s_delay_alu instid0(VALU_DEP_2) | instskip(SKIP_3) | instid1(VALU_DEP_3)
	v_sub_f32_e32 v13, v12, v7
	v_sub_f32_e32 v3, v9, v3
	v_add_f32_e32 v10, 0xbf898b3f, v115
	v_rcp_f32_e32 v133, v25
	v_sub_f32_e32 v16, v12, v13
	v_add_f32_e32 v14, 0xc0cd4577, v115
	v_dual_sub_f32 v0, v0, v8 :: v_dual_sub_f32 v1, v1, v3
	v_sub_f32_e32 v3, v9, v13
	s_delay_alu instid0(VALU_DEP_4) | instskip(NEXT) | instid1(VALU_DEP_4)
	v_dual_sub_f32 v7, v7, v16 :: v_dual_fmaak_f32 v8, s0, v115, 0x4004ac4a
	v_div_scale_f32 v118, null, v14, v14, 0x40cd4577
	s_delay_alu instid0(VALU_DEP_4) | instskip(NEXT) | instid1(VALU_DEP_3)
	v_add_f32_e32 v13, v0, v1
	v_add_f32_e32 v3, v3, v7
	v_fmaak_f32 v9, s1, v115, 0x419a8d79
	s_delay_alu instid0(VALU_DEP_4)
	v_rcp_f32_e32 v134, v118
	v_fma_f32 v147, -v25, v133, 1.0
	v_sub_f32_e32 v18, v13, v0
	v_add_f32_e32 v3, v13, v3
	v_fmaak_f32 v16, s3, v115, 0x42fe1a03
	v_fmaak_f32 v20, s19, v115, 0xb814fdf2
	;; [unrolled: 1-line block ×3, first 2 shown]
	s_delay_alu instid0(VALU_DEP_4) | instskip(SKIP_1) | instid1(TRANS32_DEP_1)
	v_dual_sub_f32 v13, v13, v18 :: v_dual_add_f32 v22, v12, v3
	v_sub_f32_e32 v1, v1, v18
	v_fma_f32 v150, -v118, v134, 1.0
	v_div_scale_f32 v18, null, v6, v6, 0x3df0ce7a
	s_delay_alu instid0(VALU_DEP_4) | instskip(SKIP_3) | instid1(VALU_DEP_4)
	v_sub_f32_e32 v0, v0, v13
	v_dual_sub_f32 v12, v22, v12 :: v_dual_fmaak_f32 v7, s2, v115, 0x4266bfe8
	v_fma_f32 v13, 0xbfb8aa3b, v115, -v2
	v_sub_f32_e32 v2, v2, v24
	v_add_f32_e32 v0, v1, v0
	s_delay_alu instid0(VALU_DEP_4) | instskip(SKIP_2) | instid1(VALU_DEP_3)
	v_sub_f32_e32 v1, v3, v12
	v_fmaak_f32 v17, s4, v115, 0x437bd497
	v_div_scale_f32 v12, null, v10, v10, 0x3f898b3f
	v_dual_fmamk_f32 v13, v115, 0xb2a5705f, v13 :: v_dual_add_f32 v0, v0, v1
	v_fmaak_f32 v7, v115, v7, 0xc4de2153
	s_delay_alu instid0(VALU_DEP_3) | instskip(SKIP_1) | instid1(VALU_DEP_3)
	v_rcp_f32_e32 v131, v12
	v_div_scale_f32 v1, s0, 0x3f898b3f, v10, 0x3f898b3f
	v_add_f32_e32 v2, v2, v13
	v_dual_add_f32 v116, v22, v0 :: v_dual_fmaak_f32 v19, s18, v115, 0xb4aff1cc
	v_div_scale_f32 v128, s2, 0x40cd4577, v14, 0x40cd4577
	v_fmac_f32_e32 v134, v150, v134
	s_delay_alu instid0(VALU_DEP_3) | instskip(SKIP_2) | instid1(TRANS32_DEP_1)
	v_sub_f32_e32 v22, v116, v22
	v_mul_f32_e32 v119, v4, v116
	v_fmaak_f32 v21, s20, v115, 0xb9dbe18f
	v_fma_f32 v13, -v12, v131, 1.0
	v_fmaak_f32 v8, v115, v8, 0xc281315e
	v_sub_f32_e32 v0, v0, v22
	v_fma_f32 v22, v4, v116, -v119
	v_fmaak_f32 v23, s21, v115, 0xba34432f
	v_fmac_f32_e32 v131, v13, v131
	v_rcp_f32_e32 v130, v18
	v_fma_f32 v151, -v129, v135, 1.0
	v_fmac_f32_e32 v22, v4, v0
	s_delay_alu instid0(VALU_DEP_3)
	v_dual_fmaak_f32 v0, v115, v16, 0xc571adfa :: v_dual_mul_f32 v13, v1, v131
	v_fmaak_f32 v16, v115, v17, 0xc5ecca48
	v_fmaak_f32 v4, v115, v19, 0x36221549
	;; [unrolled: 1-line block ×3, first 2 shown]
	v_add_f32_e32 v19, v119, v22
	v_fmaak_f32 v20, v115, v21, 0x3b7e1663
	v_fmaak_f32 v21, v115, v23, 0x3bdb224c
	v_cmp_class_f32_e64 s4, v119, 0x204
	v_div_scale_f32 v117, s1, 0x40458000, v11, 0x40458000
	v_fmac_f32_e32 v135, v151, v135
	v_fmac_f32_e32 v133, v147, v133
	s_delay_alu instid0(VALU_DEP_4)
	v_cndmask_b32_e64 v23, v19, v119, s4
	v_fmaak_f32 v145, v115, v7, 0x4698a137
	v_fma_f32 v7, -v18, v130, 1.0
	v_fmaak_f32 v146, v115, v0, 0x47253e7c
	v_exp_f32_e32 v2, v2
	v_cmp_eq_f32_e64 s4, 0x42b17218, v23
	v_div_scale_f32 v3, vcc_lo, 0x3df0ce7a, v6, 0x3df0ce7a
	v_fmac_f32_e32 v130, v7, v130
	v_cvt_i32_f32_e32 v24, v24
	s_delay_alu instid0(VALU_DEP_4) | instskip(SKIP_3) | instid1(VALU_DEP_4)
	v_cndmask_b32_e64 v132, 0, 0x37000000, s4
	v_cmp_nlt_f32_e64 s4, 0x42ce8ed0, v115
	v_mul_f32_e32 v147, v128, v134
	v_div_scale_f32 v116, s3, 0x413cea40, v15, 0x413cea40
	v_sub_f32_e32 v144, v23, v132
	v_ldexp_f32 v2, v2, v24
	s_delay_alu instid0(VALU_DEP_2) | instskip(NEXT) | instid1(VALU_DEP_2)
	v_dual_mul_f32 v0, 0x3fb8aa3b, v144 :: v_dual_sub_f32 v19, v19, v119
	v_cndmask_b32_e64 v2, 0, v2, s4
	v_cmp_neq_f32_e64 s4, 0x7f800000, |v23|
	v_fma_f32 v23, -v118, v147, v128
	s_delay_alu instid0(VALU_DEP_4)
	v_fma_f32 v148, 0x3fb8aa3b, v144, -v0
	v_rndne_f32_e32 v149, v0
	v_sub_f32_e32 v19, v22, v19
	v_fma_f32 v22, -v12, v13, v1
	v_fmac_f32_e32 v147, v23, v134
	v_fmamk_f32 v7, v144, 0x32a5705f, v148
	v_sub_f32_e32 v0, v0, v149
	v_cvt_i32_f32_e32 v119, v149
	v_cndmask_b32_e64 v19, 0, v19, s4
	v_dual_fmaak_f32 v8, v115, v8, 0x44328a3f :: v_dual_fmac_f32 v13, v22, v131
	s_delay_alu instid0(VALU_DEP_4) | instskip(NEXT) | instid1(VALU_DEP_3)
	v_dual_add_f32 v0, v0, v7 :: v_dual_mul_f32 v7, v3, v130
	v_add_f32_e32 v19, v132, v19
	s_delay_alu instid0(VALU_DEP_3) | instskip(NEXT) | instid1(VALU_DEP_3)
	v_fma_f32 v1, -v12, v13, v1
	v_exp_f32_e32 v0, v0
	s_delay_alu instid0(VALU_DEP_3) | instskip(NEXT) | instid1(VALU_DEP_1)
	v_fma_f32 v149, -v18, v7, v3
	v_fmac_f32_e32 v7, v149, v130
	v_cmp_ngt_f32_e64 s4, 0xc2ce8ed0, v144
	s_waitcnt_depctr 0xfff
	v_ldexp_f32 v0, v0, v119
	v_fma_f32 v3, -v18, v7, v3
	s_delay_alu instid0(VALU_DEP_2) | instskip(SKIP_1) | instid1(VALU_DEP_1)
	v_cndmask_b32_e64 v0, 0, v0, s4
	v_cmp_nlt_f32_e64 s4, 0x42b17218, v144
	v_cndmask_b32_e64 v0, 0x7f800000, v0, s4
	v_cmp_ngt_f32_e64 s4, 0xc2b17218, v115
	s_delay_alu instid0(VALU_DEP_2) | instskip(NEXT) | instid1(VALU_DEP_2)
	v_fma_f32 v19, v0, v19, v0
	v_cndmask_b32_e64 v2, 0x7f800000, v2, s4
	v_cmp_class_f32_e64 s4, v0, 0x204
	s_delay_alu instid0(VALU_DEP_1) | instskip(NEXT) | instid1(VALU_DEP_1)
	v_cndmask_b32_e64 v0, v19, v0, s4
	v_mul_f32_e64 v22, v2, |v0|
	v_div_fmas_f32 v2, v3, v130, v7
	s_mov_b32 vcc_lo, s0
	v_div_fmas_f32 v1, v1, v131, v13
	s_delay_alu instid0(VALU_DEP_3) | instskip(NEXT) | instid1(VALU_DEP_3)
	v_mul_f32_e64 v23, |v0|, v22
	v_div_fixup_f32 v0, v2, v6, 0x3df0ce7a
	s_mov_b32 vcc_lo, s1
	s_delay_alu instid0(VALU_DEP_3) | instskip(NEXT) | instid1(VALU_DEP_3)
	v_div_fixup_f32 v7, v1, v10, 0x3f898b3f
	v_mul_f32_e32 v2, v21, v23
	v_mul_f32_e32 v1, v20, v23
	v_fmac_f32_e32 v0, v8, v22
	v_mul_f32_e32 v8, v17, v23
	s_delay_alu instid0(VALU_DEP_4) | instskip(SKIP_1) | instid1(VALU_DEP_1)
	v_fmamk_f32 v2, v5, 0x3e8abc3d, v2
	v_dual_fmaak_f32 v9, v115, v9, 0x45ced389 :: v_dual_mul_f32 v148, v116, v135
	v_fmac_f32_e32 v7, v9, v22
	s_delay_alu instid0(VALU_DEP_2) | instskip(NEXT) | instid1(VALU_DEP_1)
	v_fma_f32 v150, -v129, v148, v116
	v_fmac_f32_e32 v148, v150, v135
	v_mul_f32_e32 v24, v117, v133
	s_delay_alu instid0(VALU_DEP_2) | instskip(NEXT) | instid1(VALU_DEP_2)
	v_fma_f32 v19, -v129, v148, v116
	v_fma_f32 v119, -v25, v24, v117
	s_delay_alu instid0(VALU_DEP_1) | instskip(NEXT) | instid1(VALU_DEP_1)
	v_fmac_f32_e32 v24, v119, v133
	v_fma_f32 v12, -v25, v24, v117
	s_delay_alu instid0(VALU_DEP_1) | instskip(SKIP_1) | instid1(VALU_DEP_1)
	v_div_fmas_f32 v3, v12, v133, v24
	s_mov_b32 vcc_lo, s2
	v_div_fixup_f32 v13, v3, v11, 0x40458000
	v_fmamk_f32 v3, v5, 0x3d1c8fe4, v1
	v_dual_mul_f32 v11, v4, v23 :: v_dual_fmamk_f32 v4, v5, 0x3ac6b947, v8
	v_fma_f32 v18, -v118, v147, v128
	v_sub_f32_e32 v1, v5, v2
	v_fmac_f32_e32 v13, v145, v22
	s_delay_alu instid0(VALU_DEP_3) | instskip(SKIP_2) | instid1(VALU_DEP_2)
	v_div_fmas_f32 v6, v18, v134, v147
	s_mov_b32 vcc_lo, s3
	v_div_fmas_f32 v10, v19, v135, v148
	v_div_fixup_f32 v18, v6, v14, 0x40cd4577
	v_dual_fmaak_f32 v6, v115, v16, 0x47a08a57 :: v_dual_sub_f32 v1, v1, v3
	s_delay_alu instid0(VALU_DEP_3) | instskip(NEXT) | instid1(VALU_DEP_3)
	v_div_fixup_f32 v23, v10, v15, 0x413cea40
	v_fmac_f32_e32 v18, v146, v22
	v_fmamk_f32 v116, v5, 0x3710a439, v11
	s_delay_alu instid0(VALU_DEP_4) | instskip(NEXT) | instid1(VALU_DEP_4)
	v_sub_f32_e32 v1, v1, v4
	v_fmac_f32_e32 v23, v6, v22
	s_delay_alu instid0(VALU_DEP_2)
	v_sub_f32_e32 v1, v1, v116
.LBB0_15:
	s_or_b32 exec_lo, exec_lo, s17
.LBB0_16:
	s_and_not1_saveexec_b32 s3, s16
	s_cbranch_execz .LBB0_18
; %bb.17:
	v_div_scale_f32 v0, null, v115, v115, 0x3f490fdb
	v_div_scale_f32 v2, vcc_lo, 0x3f490fdb, v115, 0x3f490fdb
	s_mov_b32 s2, 0xb83c4620
	s_delay_alu instid0(VALU_DEP_2)
	v_rcp_f32_e32 v1, v0
	s_mov_b32 s0, 0xb5e8af67
	s_mov_b32 s1, 0xb7864dc2
	;; [unrolled: 1-line block ×3, first 2 shown]
	s_waitcnt_depctr 0xfff
	v_fma_f32 v7, -v0, v1, 1.0
	s_delay_alu instid0(VALU_DEP_1) | instskip(SKIP_2) | instid1(VALU_DEP_3)
	v_dual_add_f32 v4, 0xbdf0ce7a, v115 :: v_dual_fmac_f32 v1, v7, v1
	v_mul_f32_e32 v3, 0xbfb8aa3b, v115
	v_fmaak_f32 v7, s2, v115, 0x3b304eed
	v_div_scale_f32 v15, null, v4, v4, 0x3df0ce7a
	s_delay_alu instid0(VALU_DEP_4) | instskip(NEXT) | instid1(VALU_DEP_4)
	v_mul_f32_e32 v14, v2, v1
	v_rndne_f32_e32 v12, v3
	v_fma_f32 v13, 0xbfb8aa3b, v115, -v3
	v_add_f32_e32 v6, 0xc0458000, v115
	s_delay_alu instid0(VALU_DEP_4) | instskip(NEXT) | instid1(VALU_DEP_1)
	v_fma_f32 v17, -v0, v14, v2
	v_dual_add_f32 v5, 0xbf898b3f, v115 :: v_dual_fmac_f32 v14, v17, v1
	s_delay_alu instid0(VALU_DEP_1) | instskip(NEXT) | instid1(VALU_DEP_2)
	v_div_scale_f32 v18, null, v5, v5, 0x3f898b3f
	v_fma_f32 v0, -v0, v14, v2
	s_delay_alu instid0(VALU_DEP_1)
	v_div_fmas_f32 v0, v0, v1, v14
	v_sub_f32_e32 v1, v3, v12
	v_fmamk_f32 v3, v115, 0xb2a5705f, v13
	v_rcp_f32_e32 v13, v18
	v_div_scale_f32 v17, null, v6, v6, 0x40458000
	v_div_fixup_f32 v0, v0, v115, 0x3f490fdb
	s_delay_alu instid0(VALU_DEP_3) | instskip(NEXT) | instid1(VALU_DEP_3)
	v_add_f32_e32 v1, v1, v3
	v_rcp_f32_e32 v14, v17
	s_delay_alu instid0(VALU_DEP_2) | instskip(SKIP_1) | instid1(TRANS32_DEP_2)
	v_mul_f32_e32 v22, 0x4f800000, v0
	v_cmp_gt_f32_e64 s2, 0xf800000, v0
	v_fma_f32 v23, -v18, v13, 1.0
	v_add_f32_e32 v8, 0xc0cd4577, v115
	v_exp_f32_e32 v1, v1
	s_delay_alu instid0(VALU_DEP_3) | instskip(NEXT) | instid1(VALU_DEP_3)
	v_cndmask_b32_e64 v3, v0, v22, s2
	v_fmac_f32_e32 v13, v23, v13
	s_delay_alu instid0(VALU_DEP_3) | instskip(NEXT) | instid1(VALU_DEP_3)
	v_div_scale_f32 v20, null, v8, v8, 0x40cd4577
	v_sqrt_f32_e32 v22, v3
	v_fmaak_f32 v9, s0, v115, 0x38fb7e46
	v_div_scale_f32 v16, s0, 0x3df0ce7a, v4, 0x3df0ce7a
	v_fmaak_f32 v10, s1, v115, 0x3a909d07
	v_div_scale_f32 v19, s1, 0x3f898b3f, v5, 0x3f898b3f
	v_rcp_f32_e32 v21, v20
	v_fmaak_f32 v11, s4, v115, 0xbb16400c
	s_delay_alu instid0(VALU_DEP_3) | instskip(SKIP_4) | instid1(VALU_DEP_3)
	v_fmaak_f32 v2, v115, v10, 0xbe19a50c
	v_cvt_i32_f32_e32 v10, v12
	v_rcp_f32_e32 v12, v15
	v_dual_fmaak_f32 v9, v115, v9, 0xbc829c7e :: v_dual_add_nc_u32 v24, -1, v22
	v_add_nc_u32_e32 v116, 1, v22
	v_ldexp_f32 v1, v1, v10
	v_mul_f32_e32 v10, v19, v13
	s_delay_alu instid0(VALU_DEP_4) | instskip(SKIP_1) | instid1(VALU_DEP_2)
	v_fma_f32 v117, -v24, v22, v3
	v_fmaak_f32 v9, v115, v9, 0x3f913d29
	v_cmp_ge_f32_e32 vcc_lo, 0, v117
	s_delay_alu instid0(VALU_DEP_2) | instskip(NEXT) | instid1(TRANS32_DEP_1)
	v_fmaak_f32 v0, v115, v9, 0xc232e2f7
	v_fma_f32 v9, -v15, v12, 1.0
	s_delay_alu instid0(VALU_DEP_2) | instskip(NEXT) | instid1(VALU_DEP_2)
	v_fmaak_f32 v0, v115, v0, 0x4484d064
	v_dual_fmac_f32 v12, v9, v12 :: v_dual_fmaak_f32 v7, v115, v7, 0xbecd562e
	v_fma_f32 v9, -v17, v14, 1.0
	s_delay_alu instid0(VALU_DEP_3) | instskip(NEXT) | instid1(VALU_DEP_2)
	v_fmaak_f32 v0, v115, v0, 0xc66d9d91
	v_dual_mul_f32 v23, v16, v12 :: v_dual_fmac_f32 v14, v9, v14
	s_delay_alu instid0(VALU_DEP_2) | instskip(NEXT) | instid1(VALU_DEP_2)
	v_fmaak_f32 v0, v115, v0, 0x47ebab72
	v_fma_f32 v25, -v15, v23, v16
	s_delay_alu instid0(VALU_DEP_1)
	v_fmac_f32_e32 v23, v25, v12
	v_fma_f32 v25, -v116, v22, v3
	v_cndmask_b32_e32 v22, v22, v24, vcc_lo
	v_cmp_nlt_f32_e32 vcc_lo, 0x42ce8ed0, v115
	v_fmaak_f32 v2, v115, v2, 0x4128e6de
	v_fma_f32 v15, -v15, v23, v16
	v_fma_f32 v24, -v18, v10, v19
	v_fmaak_f32 v7, v115, v7, 0x41deb022
	v_cndmask_b32_e32 v1, 0, v1, vcc_lo
	v_cmp_lt_f32_e32 vcc_lo, 0, v25
	v_fmaak_f32 v2, v115, v2, 0xc3cd3c02
	v_fmac_f32_e32 v10, v24, v13
	v_cndmask_b32_e32 v16, v22, v116, vcc_lo
	s_mov_b32 vcc_lo, s0
	v_fmaak_f32 v22, v115, v0, 0xc8c6d24c
	v_div_fmas_f32 v0, v15, v12, v23
	v_cmp_ngt_f32_e32 vcc_lo, 0xc2b17218, v115
	v_mul_f32_e32 v12, 0x37800000, v16
	s_delay_alu instid0(VALU_DEP_3) | instskip(SKIP_2) | instid1(VALU_DEP_4)
	v_div_fixup_f32 v0, v0, v4, 0x3df0ce7a
	v_cndmask_b32_e32 v1, 0x7f800000, v1, vcc_lo
	v_fmaak_f32 v2, v115, v2, 0x4616682d
	v_cndmask_b32_e64 v4, v16, v12, s2
	v_cmp_class_f32_e64 vcc_lo, v3, 0x260
	s_mov_b32 s2, 0xb81698a2
	s_delay_alu instid0(VALU_DEP_3) | instskip(NEXT) | instid1(VALU_DEP_3)
	v_fmaak_f32 v2, v115, v2, 0xc804b404
	v_cndmask_b32_e32 v12, v4, v3, vcc_lo
	v_div_scale_f32 v3, s0, 0x40458000, v6, 0x40458000
	s_delay_alu instid0(VALU_DEP_3) | instskip(SKIP_2) | instid1(VALU_DEP_3)
	v_fmaak_f32 v2, v115, v2, 0x4981869e
	s_mov_b32 vcc_lo, s1
	v_fmaak_f32 v4, v115, v11, 0xbd9cd29e
	v_mul_f32_e32 v11, v3, v14
	s_delay_alu instid0(VALU_DEP_3) | instskip(SKIP_1) | instid1(VALU_DEP_1)
	v_fmaak_f32 v9, v115, v2, 0xca565990
	v_fma_f32 v2, -v18, v10, v19
	v_div_fmas_f32 v2, v2, v13, v10
	v_fmaak_f32 v10, v115, v7, 0xc4831d5a
	v_fma_f32 v13, -v20, v21, 1.0
	s_mov_b32 vcc_lo, s0
	s_mov_b32 s0, 0x37e90472
	v_div_fixup_f32 v7, v2, v5, 0x3f898b3f
	v_fmaak_f32 v2, v115, v10, 0x46b92530
	v_fma_f32 v5, -v17, v11, v3
	v_fmac_f32_e32 v21, v13, v21
	v_div_scale_f32 v10, s1, 0x40cd4577, v8, 0x40cd4577
	v_fmaak_f32 v13, s2, v115, 0xbcb91c15
	s_delay_alu instid0(VALU_DEP_4) | instskip(NEXT) | instid1(VALU_DEP_3)
	v_fmac_f32_e32 v11, v5, v14
	v_dual_fmaak_f32 v2, v115, v2, 0xc89c0214 :: v_dual_mul_f32 v5, v10, v21
	s_mov_b32 s2, 0x3799fe51
	s_delay_alu instid0(VALU_DEP_3) | instskip(NEXT) | instid1(VALU_DEP_3)
	v_fmaak_f32 v13, v115, v13, 0x3f901f16
	v_fma_f32 v3, -v17, v11, v3
	s_delay_alu instid0(VALU_DEP_3)
	v_fmaak_f32 v2, v115, v2, 0x4a0f5bf4
	v_fma_f32 v15, -v20, v5, v10
	v_fmac_f32_e32 v7, v1, v9
	v_fmaak_f32 v13, v115, v13, 0xc236b374
	v_div_fmas_f32 v3, v3, v14, v11
	v_fmaak_f32 v14, v115, v2, 0xcada9c2f
	v_fmac_f32_e32 v5, v15, v21
	s_mov_b32 vcc_lo, s1
	v_fmaak_f32 v11, v115, v13, 0x44844173
	v_div_fixup_f32 v13, v3, v6, 0x40458000
	s_mov_b32 s1, 0xaffd7e2f
	v_fma_f32 v2, -v20, v5, v10
	v_add_f32_e32 v10, 0xc13cea40, v115
	v_fmaak_f32 v3, v115, v11, 0xc6354148
	v_fmaak_f32 v17, s1, v115, 0x34199ec3
	;; [unrolled: 1-line block ×3, first 2 shown]
	v_div_fmas_f32 v5, v2, v21, v5
	s_delay_alu instid0(VALU_DEP_4) | instskip(SKIP_1) | instid1(VALU_DEP_4)
	v_dual_fmac_f32 v13, v1, v14 :: v_dual_fmaak_f32 v2, v115, v3, 0xc71f19c3
	v_div_scale_f32 v3, null, v10, v10, 0x413cea40
	v_dual_fmaak_f32 v15, v115, v15, 0x3df2bada :: v_dual_fmac_f32 v0, v1, v22
	s_delay_alu instid0(VALU_DEP_3) | instskip(NEXT) | instid1(VALU_DEP_3)
	v_fmaak_f32 v19, v115, v2, 0x4a07a12d
	v_rcp_f32_e32 v16, v3
	v_fmaak_f32 v2, v115, v17, 0xb7898a57
	s_delay_alu instid0(VALU_DEP_3) | instskip(NEXT) | instid1(VALU_DEP_2)
	v_fmaak_f32 v15, v115, v15, 0xc0d649ba
	v_fmaak_f32 v2, v115, v2, 0x3a97c510
	s_delay_alu instid0(VALU_DEP_2) | instskip(SKIP_3) | instid1(VALU_DEP_2)
	v_fmaak_f32 v15, v115, v15, 0x4374ca15
	s_waitcnt_depctr 0xfff
	v_fma_f32 v17, -v3, v16, 1.0
	v_fmaak_f32 v2, v115, v2, 0xbd5952a9
	v_dual_fmaak_f32 v15, v115, v15, 0xc5b1c29d :: v_dual_fmac_f32 v16, v17, v16
	v_div_scale_f32 v17, vcc_lo, 0x413cea40, v10, 0x413cea40
	s_delay_alu instid0(VALU_DEP_2) | instskip(NEXT) | instid1(VALU_DEP_4)
	v_fmaak_f32 v15, v115, v15, 0x479f1561
	v_fmaak_f32 v2, v115, v2, 0x3fce47c6
	s_delay_alu instid0(VALU_DEP_2) | instskip(NEXT) | instid1(VALU_DEP_2)
	v_dual_mul_f32 v18, v17, v16 :: v_dual_fmaak_f32 v15, v115, v15, 0xc91ff4d1
	v_fmaak_f32 v2, v115, v2, 0xc2014c9c
	s_delay_alu instid0(VALU_DEP_2) | instskip(NEXT) | instid1(VALU_DEP_3)
	v_fma_f32 v20, -v3, v18, v17
	v_fmaak_f32 v15, v115, v15, 0x4a0a30b4
	s_delay_alu instid0(VALU_DEP_3) | instskip(NEXT) | instid1(VALU_DEP_2)
	v_fmaak_f32 v2, v115, v2, 0x43ce00f0
	v_dual_fmac_f32 v18, v20, v16 :: v_dual_mul_f32 v15, v1, v15
	s_delay_alu instid0(VALU_DEP_2) | instskip(NEXT) | instid1(VALU_DEP_2)
	v_fmaak_f32 v20, v115, v2, 0xc53ce99c
	v_fma_f32 v17, -v3, v18, v17
	s_delay_alu instid0(VALU_DEP_3) | instskip(NEXT) | instid1(VALU_DEP_3)
	v_fmamk_f32 v3, v12, 0x3d1c8fe4, v15
	v_fmaak_f32 v20, v115, v20, 0x4617cf01
	s_delay_alu instid0(VALU_DEP_3) | instskip(SKIP_2) | instid1(VALU_DEP_4)
	v_div_fmas_f32 v16, v17, v16, v18
	v_div_fixup_f32 v18, v5, v8, 0x40cd4577
	v_fmaak_f32 v5, v115, v19, 0xcb75f75e
	v_mul_f32_e32 v17, v1, v20
	s_delay_alu instid0(VALU_DEP_4) | instskip(NEXT) | instid1(VALU_DEP_2)
	v_div_fixup_f32 v23, v16, v10, 0x413cea40
	v_fmamk_f32 v116, v12, 0x3710a439, v17
	s_delay_alu instid0(VALU_DEP_2) | instskip(NEXT) | instid1(VALU_DEP_1)
	v_dual_fmac_f32 v23, v1, v5 :: v_dual_fmaak_f32 v4, v115, v4, 0x411207e1
	v_fmaak_f32 v4, v115, v4, 0xc36813b9
	s_delay_alu instid0(VALU_DEP_1) | instskip(NEXT) | instid1(VALU_DEP_1)
	v_fmaak_f32 v4, v115, v4, 0x438ceb77
	v_fmaak_f32 v4, v115, v4, 0x47bb687c
	s_delay_alu instid0(VALU_DEP_1) | instskip(NEXT) | instid1(VALU_DEP_1)
	v_fmaak_f32 v4, v115, v4, 0xc9d8d82d
	v_fmaak_f32 v6, v115, v4, 0x4b1c6310
	;; [unrolled: 1-line block ×3, first 2 shown]
	s_mov_b32 s0, 0xb2ced85b
	s_delay_alu instid0(VALU_DEP_2) | instid1(SALU_CYCLE_1)
	v_dual_fmaak_f32 v11, s0, v115, 0x370855d6 :: v_dual_fmac_f32 v18, v1, v6
	s_delay_alu instid0(VALU_DEP_2) | instskip(NEXT) | instid1(VALU_DEP_2)
	v_fmaak_f32 v4, v115, v4, 0x3e24f189
	v_fmaak_f32 v11, v115, v11, 0xba6d1b64
	s_delay_alu instid0(VALU_DEP_2) | instskip(NEXT) | instid1(VALU_DEP_2)
	v_fmaak_f32 v4, v115, v4, 0xc10f7aa0
	v_fmaak_f32 v11, v115, v11, 0x3d829922
	;; [unrolled: 3-line block ×6, first 2 shown]
	s_delay_alu instid0(VALU_DEP_2) | instskip(NEXT) | instid1(VALU_DEP_1)
	v_fmaak_f32 v4, v115, v4, 0x4a3d9949
	v_dual_fmaak_f32 v11, v115, v11, 0xc831971e :: v_dual_mul_f32 v4, v1, v4
	s_delay_alu instid0(VALU_DEP_1) | instskip(NEXT) | instid1(VALU_DEP_2)
	v_fmaak_f32 v11, v115, v11, 0x4911b76c
	v_fmamk_f32 v2, v12, 0x3e8abc3d, v4
	v_fmamk_f32 v4, v1, 0xbca0ba1f, v12
	s_delay_alu instid0(VALU_DEP_3) | instskip(NEXT) | instid1(VALU_DEP_2)
	v_mul_f32_e32 v11, v1, v11
	v_sub_f32_e32 v15, v4, v2
	s_delay_alu instid0(VALU_DEP_1) | instskip(NEXT) | instid1(VALU_DEP_1)
	v_dual_fmamk_f32 v4, v12, 0x3ac6b947, v11 :: v_dual_sub_f32 v11, v15, v3
	v_sub_f32_e32 v8, v11, v4
	s_delay_alu instid0(VALU_DEP_1)
	v_sub_f32_e32 v1, v8, v116
.LBB0_18:
	s_or_b32 exec_lo, exec_lo, s3
.LBB0_19:
	s_and_not1_saveexec_b32 s0, s15
	s_cbranch_execz .LBB0_21
; %bb.20:
	v_add_f32_e32 v5, 0xc1b40000, v115
	s_mov_b32 s3, 0x270e00c0
	s_mov_b32 s4, 0x2870bf87
	;; [unrolled: 1-line block ×4, first 2 shown]
	v_fmaak_f32 v1, s3, v5, 0xa95c6a33
	v_fmaak_f32 v2, s4, v5, 0xaa2f78e1
	;; [unrolled: 1-line block ×4, first 2 shown]
	s_mov_b32 s2, 0xa988b248
	v_fmaak_f32 v1, v5, v1, 0x29ffe8d7
	v_fmaak_f32 v4, s2, v5, 0x2b92ff2d
	;; [unrolled: 1-line block ×38, first 2 shown]
	s_mov_b32 s1, 0x9dd50ccf
	v_fmaak_f32 v0, v5, v0, 0x38ce7e31
	v_fmaak_f32 v1, v5, v1, 0xbc0395d7
	;; [unrolled: 1-line block ×8, first 2 shown]
	s_mov_b32 s1, 0xa21e6225
	v_fmaak_f32 v0, v5, v3, 0x3babec00
	v_fmaak_f32 v3, s1, v5, 0xa2352a85
	;; [unrolled: 1-line block ×5, first 2 shown]
	s_mov_b32 s2, 0xa823fdf6
	v_fmaak_f32 v3, v5, v3, 0x26309378
	s_mov_b32 s1, 0x27c70426
	v_fmaak_f32 v1, v5, v1, 0x241ad803
	v_fmaak_f32 v23, v5, v2, 0x3f8c9e35
	;; [unrolled: 1-line block ×3, first 2 shown]
	s_mov_b32 s2, 0x278feb72
	v_fmaak_f32 v7, v5, v6, 0x3d4d256d
	v_fmaak_f32 v4, s1, v5, 0xa990e2e4
	;; [unrolled: 1-line block ×50, first 2 shown]
.LBB0_21:
	s_or_b32 exec_lo, exec_lo, s0
.LBB0_22:
	s_and_not1_saveexec_b32 s0, s14
	s_cbranch_execz .LBB0_24
; %bb.23:
	v_add_f32_e32 v5, 0xc18c0000, v115
	s_mov_b32 s2, 0x27121e07
	s_mov_b32 s4, 0xa752b1bb
	;; [unrolled: 1-line block ×4, first 2 shown]
	v_fmaak_f32 v1, s4, v5, 0x28aee06f
	v_fmaak_f32 v3, s2, v5, 0x28371982
	v_fmaak_f32 v0, s1, v5, 0x2661d98f
	s_mov_b32 s1, 0x285486e3
	v_fmaak_f32 v4, s3, v5, 0x2987366b
	v_fmaak_f32 v2, s1, v5, 0x2a0bc999
	v_fmaak_f32 v1, v5, v1, 0x2b08c803
	v_fmaak_f32 v3, v5, v3, 0xaabe943b
	s_mov_b32 s1, 0x1efe73e4
	v_fmaak_f32 v4, v5, v4, 0xabafe40f
	;; [unrolled: 5-line block ×3, first 2 shown]
	v_fmaak_f32 v2, v5, v2, 0xad0870fd
	v_fmaak_f32 v1, v5, v1, 0xaea4961d
	;; [unrolled: 1-line block ×39, first 2 shown]
	s_mov_b32 s1, 0x26fbf950
	v_fmaak_f32 v2, v5, v2, 0xbe7b8ca6
	v_fmaak_f32 v18, v5, v1, 0x3f0fea6b
	;; [unrolled: 1-line block ×7, first 2 shown]
	s_mov_b32 s1, 0x2376df6b
	v_fmaak_f32 v1, v5, v1, 0xa4d12232
	v_fmaak_f32 v3, s1, v5, 0xa5c6c9ae
	s_mov_b32 s1, 0xa688e20b
	v_fmaak_f32 v2, v5, v2, 0xaaa8ec10
	v_fmaak_f32 v6, s1, v5, 0x27f0a4f0
	;; [unrolled: 1-line block ×56, first 2 shown]
.LBB0_24:
	s_or_b32 exec_lo, exec_lo, s0
.LBB0_25:
	s_and_not1_saveexec_b32 s0, s13
	s_cbranch_execz .LBB0_27
; %bb.26:
	v_add_f32_e32 v5, 0xc1480000, v115
	s_mov_b32 s2, 0xa6038377
	s_mov_b32 s1, 0xa440066a
	;; [unrolled: 1-line block ×3, first 2 shown]
	s_delay_alu instid0(VALU_DEP_1)
	v_fmaak_f32 v1, s2, v5, 0x27e128b1
	v_fmaak_f32 v0, s1, v5, 0x264fc70a
	s_mov_b32 s1, 0xa8ca1751
	v_fmaak_f32 v3, s3, v5, 0x28c0afef
	v_fmaak_f32 v2, s1, v5, 0x295b6d37
	;; [unrolled: 1-line block ×3, first 2 shown]
	s_mov_b32 s2, 0xa7e77227
	s_mov_b32 s1, 0xa018590b
	v_fmaak_f32 v3, v5, v3, 0x2b5dec6d
	v_fmaak_f32 v2, v5, v2, 0x2cc4968c
	;; [unrolled: 1-line block ×4, first 2 shown]
	s_mov_b32 s2, 0xa6980722
	v_fmaak_f32 v3, v5, v3, 0xab7dfc70
	v_fmaak_f32 v2, v5, v2, 0xac564a67
	;; [unrolled: 1-line block ×35, first 2 shown]
	s_delay_alu instid0(VALU_DEP_4) | instskip(NEXT) | instid1(VALU_DEP_4)
	v_fmaak_f32 v2, v5, v2, 0x3d2d6940
	v_fmaak_f32 v7, v5, v1, 0x3db1d10d
	;; [unrolled: 1-line block ×4, first 2 shown]
	s_mov_b32 s1, 0x22395373
	v_fmaak_f32 v2, v5, v2, 0xbf13a93a
	v_fmaak_f32 v6, s1, v5, 0xa44718f2
	;; [unrolled: 1-line block ×7, first 2 shown]
	s_mov_b32 s1, 0x25cf89a3
	v_fmaak_f32 v2, v5, v3, 0x2603be95
	v_fmaak_f32 v4, v5, v4, 0xbda2098e
	v_fmaak_f32 v3, s1, v5, 0xa7e0e884
	v_fmaak_f32 v1, v5, v1, 0xa8371f1b
	s_mov_b32 s1, 0x2821c54e
	v_fmaak_f32 v2, v5, v2, 0xa7e307af
	v_fmaak_f32 v18, v5, v4, 0x3f5c2cc2
	;; [unrolled: 1-line block ×59, first 2 shown]
.LBB0_27:
	s_or_b32 exec_lo, exec_lo, s0
.LBB0_28:
	s_and_not1_saveexec_b32 s0, s12
	s_cbranch_execz .LBB0_30
; %bb.29:
	v_add_f32_e32 v5, 0xc0f00000, v115
	s_mov_b32 s1, 0xa84d0c9c
	s_mov_b32 s2, 0xa7844894
	;; [unrolled: 1-line block ×4, first 2 shown]
	v_fmaak_f32 v0, s2, v5, 0x28665c86
	v_fmaak_f32 v2, s1, v5, 0x2a55a02a
	;; [unrolled: 1-line block ×4, first 2 shown]
	s_mov_b32 s2, 0xaa067ae9
	v_fmaak_f32 v0, v5, v0, 0xabb6767e
	v_fmaak_f32 v2, v5, v2, 0xaca96f2d
	;; [unrolled: 1-line block ×33, first 2 shown]
	s_mov_b32 s12, 0x21572974
	v_fmaak_f32 v4, v5, v4, 0xb7c71841
	v_fmaak_f32 v1, v5, v1, 0xb952db26
	;; [unrolled: 1-line block ×6, first 2 shown]
	s_mov_b32 s1, 0xa348a2a3
	v_fmaak_f32 v4, v5, v4, 0x3641c034
	v_fmaak_f32 v1, v5, v1, 0x3c0148ef
	;; [unrolled: 1-line block ×10, first 2 shown]
	s_mov_b32 s1, 0xa66c9de8
	v_fmaak_f32 v18, v5, v1, 0x3fb32774
	v_fmaak_f32 v1, v5, v4, 0xbf859021
	v_fmaak_f32 v4, s1, v5, 0x2877704b
	v_fmaak_f32 v2, v5, v2, 0x2939e153
	v_fmaak_f32 v3, v5, v3, 0x29394dfa
	s_mov_b32 s2, 0x26b51f40
	v_fmaak_f32 v23, v5, v1, 0x40fcc4bc
	v_fmaak_f32 v1, s2, v5, 0xa8d3021f
	v_fmaak_f32 v4, v5, v4, 0xaa63c10f
	v_fmaak_f32 v2, v5, v2, 0xab258bcd
	v_fmaak_f32 v3, v5, v3, 0xab193ecb
	;; [unrolled: 6-line block ×3, first 2 shown]
	v_fmaak_f32 v1, v5, v1, 0xacf05408
	v_fmaak_f32 v4, v5, v4, 0xae40fb43
	;; [unrolled: 1-line block ×49, first 2 shown]
.LBB0_30:
	s_or_b32 exec_lo, exec_lo, s0
.LBB0_31:
	s_and_not1_saveexec_b32 s0, s11
	s_cbranch_execz .LBB0_33
; %bb.32:
	v_add_f32_e32 v5, 0xc0400000, v115
	s_mov_b32 s3, 0xa99b4e1a
	s_mov_b32 s4, 0xac7e3ce8
	;; [unrolled: 1-line block ×4, first 2 shown]
	v_fmaak_f32 v1, s3, v5, 0x2b26a6ba
	v_fmaak_f32 v3, s4, v5, 0xadee3388
	;; [unrolled: 1-line block ×3, first 2 shown]
	s_mov_b32 s2, 0x2b4880f0
	v_fmaak_f32 v2, s1, v5, 0x2b652811
	v_fmaak_f32 v1, v5, v1, 0x2da27a98
	;; [unrolled: 1-line block ×29, first 2 shown]
	s_mov_b32 s3, 0xa66b6b05
	v_fmaak_f32 v0, v5, v0, 0xb83196c5
	v_fmaak_f32 v1, v5, v1, 0x3b540aef
	;; [unrolled: 1-line block ×5, first 2 shown]
	s_mov_b32 s1, 0x283b7ae5
	v_fmaak_f32 v1, v5, v1, 0xbd74c58a
	v_fmaak_f32 v0, v5, v0, 0x3a6f159b
	;; [unrolled: 1-line block ×8, first 2 shown]
	s_mov_b32 s1, 0xa91a6110
	v_fmaak_f32 v6, v5, v0, 0xbc79d283
	v_fmaak_f32 v0, v5, v2, 0x3c8e1023
	v_fmaak_f32 v1, v5, v1, 0xaa5112f7
	v_fmaak_f32 v2, v5, v4, 0xbfbcc86b
	v_fmaak_f32 v4, s1, v5, 0x2b143093
	v_fmaak_f32 v3, v5, v3, 0x2c19a711
	s_mov_b32 s2, 0x2911b091
	v_fmaak_f32 v1, v5, v1, 0x2c36bc73
	v_fmaak_f32 v23, v5, v2, 0x415920af
	v_fmaak_f32 v2, s2, v5, 0xab1394d7
	v_fmaak_f32 v4, v5, v4, 0xacfcc6b3
	v_fmaak_f32 v3, v5, v3, 0xae0146bc
	v_fmaak_f32 v1, v5, v1, 0xae14548c
	;; [unrolled: 7-line block ×3, first 2 shown]
	v_fmaak_f32 v2, v5, v2, 0xaefc0358
	v_fmaak_f32 v4, v5, v4, 0xb0aaf9df
	;; [unrolled: 1-line block ×49, first 2 shown]
.LBB0_33:
	s_or_b32 exec_lo, exec_lo, s0
.LBB0_34:
	s_and_not1_saveexec_b32 s0, s10
	s_cbranch_execz .LBB0_36
; %bb.35:
	s_mov_b32 s2, 0x2f5455b2
	s_mov_b32 s1, 0xae44739a
	v_fmaak_f32 v1, s2, v115, 0xb19d1daf
	v_fmaak_f32 v0, s1, v115, 0x30a78266
	s_mov_b32 s1, 0x31a6a427
	s_mov_b32 s2, 0xb2195195
	v_fmaak_f32 v2, s1, v115, 0x340d3d23
	v_fmaak_f32 v1, v115, v1, 0x32d55286
	;; [unrolled: 1-line block ×3, first 2 shown]
	s_mov_b32 s1, 0xb48574d2
	s_mov_b32 s3, 0xb32556fa
	v_fmaak_f32 v2, v115, v2, 0xb639ac78
	v_fmaak_f32 v1, v115, v1, 0x35ca49e0
	v_fmaak_f32 v3, v115, v3, 0x364c0fc5
	v_fmaak_f32 v4, s1, v115, 0xb691c9c6
	s_mov_b32 s1, 0x318cbc57
	v_fmaak_f32 v2, v115, v2, 0xb8a074df
	v_fmaak_f32 v1, v115, v1, 0xb87eb4fd
	v_fmaak_f32 v3, v115, v3, 0x38dded41
	v_fmaak_f32 v4, v115, v4, 0xb54841fc
	;; [unrolled: 5-line block ×3, first 2 shown]
	v_fmaak_f32 v0, v115, v0, 0xb2e1e4d2
	v_fmaak_f32 v2, v115, v2, 0xbda7392a
	;; [unrolled: 1-line block ×9, first 2 shown]
	s_mov_b32 s1, 0xb221d38a
	v_fmaak_f32 v23, v115, v3, 0x4193524d
	v_fmaak_f32 v2, s1, v115, 0x341e535e
	;; [unrolled: 1-line block ×9, first 2 shown]
	s_mov_b32 s1, 0xb10c10db
	v_fmaak_f32 v4, v115, v4, 0x35d72305
	v_fmaak_f32 v5, s1, v115, 0x33271f1f
	;; [unrolled: 1-line block ×39, first 2 shown]
.LBB0_36:
	s_or_b32 exec_lo, exec_lo, s0
.LBB0_37:
	s_and_not1_saveexec_b32 s0, s9
	s_cbranch_execz .LBB0_39
; %bb.38:
	s_mov_b32 s1, 0xbb0d784d
	s_mov_b32 s2, 0xbcb46f9c
	v_fmaak_f32 v0, s1, v115, 0x3cb9ade5
	v_fmaak_f32 v7, s2, v115, 0x3e6cd27d
	s_mov_b32 s1, 0xbda7392a
	s_mov_b32 s2, 0xbe90feb9
	v_fmaak_f32 v13, s1, v115, 0x3f5b7b07
	v_fmaak_f32 v18, s2, v115, 0x403e4e52
	;; [unrolled: 4-line block ×5, first 2 shown]
.LBB0_39:
	s_or_b32 exec_lo, exec_lo, s0
	v_add_nc_u32_e64 v117, 16, s32
	s_mov_b32 s0, exec_lo
	s_xor_b32 s1, exec_lo, -1
	scratch_store_b128 off, v[1:4], s32
.LBB0_40:
	s_or_b32 exec_lo, exec_lo, s8
	s_delay_alu instid0(SALU_CYCLE_1)
	s_and_b32 s4, s0, exec_lo
	s_and_b32 s0, s1, exec_lo
	s_and_not1_saveexec_b32 s1, s7
	s_cbranch_execnz .LBB0_327
.LBB0_41:
	s_or_b32 exec_lo, exec_lo, s1
	s_and_saveexec_b32 s1, s0
	s_cbranch_execz .LBB0_328
.LBB0_42:
                                        ; implicit-def: $vgpr0_vgpr1_vgpr2_vgpr3_vgpr4_vgpr5_vgpr6
	s_and_not1_b32 s6, s6, exec_lo
                                        ; implicit-def: $vgpr6_vgpr7_vgpr8_vgpr9_vgpr10_vgpr11_vgpr12
                                        ; implicit-def: $vgpr23
                                        ; implicit-def: $vgpr116
                                        ; implicit-def: $vgpr11_vgpr12_vgpr13_vgpr14_vgpr15_vgpr16_vgpr17
                                        ; implicit-def: $vgpr15_vgpr16_vgpr17_vgpr18_vgpr19_vgpr20_vgpr21
	s_or_b32 exec_lo, exec_lo, s1
	s_and_saveexec_b32 s7, s6
	s_cbranch_execnz .LBB0_329
.LBB0_43:
	s_or_b32 exec_lo, exec_lo, s7
	s_delay_alu instid0(SALU_CYCLE_1)
	s_and_b32 s4, s4, exec_lo
                                        ; implicit-def: $vgpr115
	s_and_not1_saveexec_b32 s5, s5
	s_cbranch_execnz .LBB0_188
.LBB0_44:
	s_or_b32 exec_lo, exec_lo, s5
	s_and_saveexec_b32 s0, s4
	s_cbranch_execz .LBB0_46
.LBB0_45:
	scratch_store_b32 v117, v116, off
.LBB0_46:
	s_or_b32 exec_lo, exec_lo, s0
	v_mov_b32_e32 v24, 0
	s_mov_b32 s36, exec_lo
	v_cmpx_lt_i32_e32 -2, v114
	s_cbranch_execz .LBB0_367
; %bb.47:
	v_div_scale_f32 v4, null, v68, v68, 0.5
	v_div_scale_f32 v3, null, v67, v67, 0.5
	v_mul_f32_e64 v5, -v99, v100
	s_delay_alu instid0(VALU_DEP_3) | instskip(SKIP_1) | instid1(VALU_DEP_3)
	v_rcp_f32_e32 v9, v4
	v_div_scale_f32 v14, s0, 0.5, v67, 0.5
	v_rcp_f32_e32 v8, v3
	s_delay_alu instid0(VALU_DEP_2) | instskip(SKIP_3) | instid1(VALU_DEP_4)
	v_div_scale_f32 v10, null, v67, v67, v5
	v_cmp_lt_i32_e64 s14, -1, v52
	v_cmp_lt_i32_e64 s15, -1, v29
	v_cmp_lt_i32_e64 s16, 1, v29
	v_rcp_f32_e32 v12, v10
	s_delay_alu instid0(TRANS32_DEP_3) | instskip(SKIP_2) | instid1(TRANS32_DEP_2)
	v_fma_f32 v15, -v4, v9, 1.0
	v_mul_f32_e32 v2, v101, v102
	v_cmp_lt_u32_e64 s18, 1, v52
	v_fma_f32 v1, -v3, v8, 1.0
	v_cmp_lt_i32_e64 s24, -1, v53
	v_fmac_f32_e32 v9, v15, v9
	v_div_scale_f32 v6, null, v68, v68, v2
	v_div_scale_f32 v17, vcc_lo, v2, v68, v2
	v_div_scale_f32 v15, s1, 0.5, v68, 0.5
	s_delay_alu instid0(VALU_DEP_3)
	v_rcp_f32_e32 v11, v6
	v_cmp_lt_i32_e64 s25, -1, v32
	v_cmp_lt_i32_e64 s26, 1, v32
	v_cmp_lt_u32_e64 s28, 1, v53
	s_mov_b32 s37, 0
	s_mov_b32 s45, 0
	v_mul_f32_e32 v21, v15, v9
	s_waitcnt_depctr 0xfff
	v_fma_f32 v16, -v6, v11, 1.0
	v_fmac_f32_e32 v8, v1, v8
	v_fma_f32 v1, -v10, v12, 1.0
	v_fma_f32 v25, -v4, v21, v15
	s_delay_alu instid0(VALU_DEP_4) | instskip(NEXT) | instid1(VALU_DEP_4)
	v_fmac_f32_e32 v11, v16, v11
	v_mul_f32_e32 v19, v14, v8
	s_delay_alu instid0(VALU_DEP_4) | instskip(SKIP_1) | instid1(VALU_DEP_4)
	v_fmac_f32_e32 v12, v1, v12
	v_div_scale_f32 v16, s2, v5, v67, v5
	v_mul_f32_e32 v20, v17, v11
	s_delay_alu instid0(VALU_DEP_4) | instskip(NEXT) | instid1(VALU_DEP_3)
	v_fma_f32 v1, -v3, v19, v14
	v_dual_fmac_f32 v21, v25, v9 :: v_dual_mul_f32 v22, v16, v12
	s_delay_alu instid0(VALU_DEP_3) | instskip(NEXT) | instid1(VALU_DEP_3)
	v_fma_f32 v24, -v6, v20, v17
	v_fmac_f32_e32 v19, v1, v8
	v_sub_f32_e32 v1, v87, v98
	s_delay_alu instid0(VALU_DEP_4) | instskip(SKIP_3) | instid1(VALU_DEP_4)
	v_fma_f32 v99, -v10, v22, v16
	v_fma_f32 v4, -v4, v21, v15
	v_fmac_f32_e32 v20, v24, v11
	v_fma_f32 v3, -v3, v19, v14
	v_fmac_f32_e32 v22, v99, v12
	s_delay_alu instid0(VALU_DEP_3) | instskip(NEXT) | instid1(VALU_DEP_2)
	v_fma_f32 v6, -v6, v20, v17
	v_fma_f32 v10, -v10, v22, v16
	s_delay_alu instid0(VALU_DEP_2)
	v_div_fmas_f32 v6, v6, v11, v20
	s_mov_b32 vcc_lo, s0
	v_cmp_lt_i32_e64 s0, -1, v51
	v_div_fmas_f32 v15, v3, v8, v19
	s_mov_b32 vcc_lo, s1
	v_div_fixup_f32 v14, v6, v68, v2
	v_div_fmas_f32 v16, v4, v9, v21
	s_mov_b32 vcc_lo, s2
	v_mul_f32_e32 v6, 0x4f800000, v103
	v_div_fmas_f32 v3, v10, v12, v22
	v_sub_f32_e32 v2, v86, v97
	v_cmp_gt_f32_e32 vcc_lo, 0xf800000, v103
	v_dual_sub_f32 v21, v112, v87 :: v_dual_add_nc_u32 v4, v51, v33
	v_sub_f32_e32 v19, v113, v86
	v_div_fixup_f32 v12, v3, v67, v5
	v_dual_mul_f32 v8, v1, v14 :: v_dual_add_nc_u32 v3, v28, v48
	v_dual_cndmask_b32 v17, v103, v6 :: v_dual_sub_f32 v6, v113, v87
	s_delay_alu instid0(VALU_DEP_3) | instskip(NEXT) | instid1(VALU_DEP_3)
	v_mul_f32_e32 v9, v2, v12
	v_dual_sub_f32 v5, v112, v86 :: v_dual_mul_f32 v8, v1, v8
	s_delay_alu instid0(VALU_DEP_3)
	v_sqrt_f32_e32 v11, v17
	v_cmp_lt_i32_e64 s4, 0, v3
	v_cmp_lt_i32_e64 s5, 0, v4
	v_div_fixup_f32 v16, v16, v68, 0.5
	v_fma_f32 v20, v2, v9, -v8
	v_dual_sub_f32 v8, v69, v82 :: v_dual_sub_f32 v9, v70, v81
	s_delay_alu instid0(VALU_DEP_4)
	s_and_b32 s38, s4, s5
	v_cmp_lt_i32_e64 s1, -1, v28
	s_delay_alu instid0(TRANS32_DEP_1) | instid1(VALU_DEP_3)
	v_dual_mul_f32 v10, 0x3fb8aa3b, v20 :: v_dual_add_nc_u32 v81, -1, v11
	s_delay_alu instid0(VALU_DEP_3) | instskip(SKIP_1) | instid1(VALU_DEP_3)
	v_dual_mul_f32 v22, v8, v14 :: v_dual_add_nc_u32 v87, 1, v11
	v_mul_f32_e32 v86, v9, v12
	v_fma_f32 v24, 0x3fb8aa3b, v20, -v10
	v_rndne_f32_e32 v25, v10
	v_fma_f32 v97, -v81, v11, v17
	v_mul_f32_e32 v22, v8, v22
	v_cmp_lt_i32_e64 s2, 1, v28
	v_fmac_f32_e32 v24, 0x32a5705f, v20
	v_sub_f32_e32 v82, v10, v25
	v_sub_f32_e32 v10, v66, v80
	v_fma_f32 v80, -v87, v11, v17
	v_cmp_ge_f32_e64 s3, 0, v97
	v_cvt_i32_f32_e32 v25, v25
	v_add_f32_e32 v24, v82, v24
	v_cmp_lt_i32_e64 s6, 1, v3
	v_cmp_lt_i32_e64 s7, 1, v4
	v_cndmask_b32_e64 v81, v11, v81, s3
	v_cmp_lt_f32_e64 s3, 0, v80
	v_exp_f32_e32 v24, v24
	v_sub_f32_e32 v11, v65, v71
	v_fma_f32 v22, v9, v86, -v22
	v_cmp_eq_f32_e64 s8, 1.0, v2
	v_cndmask_b32_e64 v71, v81, v87, s3
	v_cmp_ngt_f32_e64 s3, 0xc2ce8ed0, v20
	v_cmp_eq_f32_e64 s9, 1.0, v1
	v_div_fixup_f32 v15, v15, v67, 0.5
	v_cmp_eq_f32_e64 s17, 1.0, v9
	v_mul_f32_e32 v86, 0x37800000, v71
	v_ldexp_f32 v24, v24, v25
	v_cmp_eq_f32_e64 s19, 1.0, v8
	v_cmp_eq_f32_e64 s29, 1.0, v11
	s_delay_alu instid0(VALU_DEP_4) | instskip(NEXT) | instid1(VALU_DEP_4)
	v_cndmask_b32_e32 v71, v71, v86, vcc_lo
	v_cndmask_b32_e64 v24, 0, v24, s3
	v_cmp_nlt_f32_e32 vcc_lo, 0x42b17218, v20
	v_mul_f32_e32 v12, v10, v12
	v_cmp_lt_u32_e64 s3, 1, v51
	v_cmp_eq_f32_e64 s27, 1.0, v10
	v_cndmask_b32_e32 v20, 0x7f800000, v24, vcc_lo
	v_mul_f32_e32 v14, v11, v14
	v_cmp_class_f32_e64 vcc_lo, v17, 0x260
	s_delay_alu instid0(VALU_DEP_3) | instskip(NEXT) | instid1(VALU_DEP_3)
	v_dual_cndmask_b32 v86, v71, v17 :: v_dual_mul_f32 v17, 0x40490fdb, v20
	v_mul_f32_e32 v14, v11, v14
	v_cmp_ngt_f32_e32 vcc_lo, 0xc2ce8ed0, v22
	s_delay_alu instid0(VALU_DEP_3) | instskip(NEXT) | instid1(VALU_DEP_3)
	v_div_scale_f32 v71, null, v86, v86, v17
	v_fma_f32 v24, v10, v12, -v14
	v_mul_f32_e32 v82, 0x3fb8aa3b, v22
	v_mul_f32_e32 v12, v68, v19
	s_delay_alu instid0(VALU_DEP_3) | instskip(NEXT) | instid1(VALU_DEP_3)
	v_cmp_ngt_f32_e64 s10, 0xc2ce8ed0, v24
	v_fma_f32 v80, 0x3fb8aa3b, v22, -v82
	v_rndne_f32_e32 v81, v82
	v_cmp_nlt_f32_e64 s11, 0x42b17218, v24
	s_delay_alu instid0(VALU_DEP_2) | instskip(SKIP_1) | instid1(VALU_DEP_2)
	v_dual_fmac_f32 v80, 0x32a5705f, v22 :: v_dual_sub_f32 v25, v82, v81
	v_cvt_i32_f32_e32 v20, v81
	v_add_f32_e32 v25, v25, v80
	v_rcp_f32_e32 v80, v71
	s_delay_alu instid0(VALU_DEP_1) | instskip(SKIP_1) | instid1(VALU_DEP_1)
	v_exp_f32_e32 v14, v25
	v_mul_f32_e32 v25, 0x3fb8aa3b, v24
	v_fma_f32 v19, 0x3fb8aa3b, v24, -v25
	s_waitcnt_depctr 0xfff
	v_ldexp_f32 v14, v14, v20
	v_fmac_f32_e32 v19, 0x32a5705f, v24
	v_rndne_f32_e32 v20, v25
	s_delay_alu instid0(VALU_DEP_3) | instskip(SKIP_1) | instid1(VALU_DEP_3)
	v_cndmask_b32_e32 v81, 0, v14, vcc_lo
	v_cmp_nlt_f32_e32 vcc_lo, 0x42b17218, v22
	v_sub_f32_e32 v25, v25, v20
	v_cvt_i32_f32_e32 v20, v20
	s_delay_alu instid0(VALU_DEP_2) | instskip(SKIP_1) | instid1(VALU_DEP_2)
	v_dual_cndmask_b32 v22, 0x7f800000, v81 :: v_dual_add_f32 v19, v25, v19
	v_fma_f32 v81, -v71, v80, 1.0
	v_mul_f32_e32 v82, 0x40490fdb, v22
	s_delay_alu instid0(VALU_DEP_3) | instskip(SKIP_1) | instid1(VALU_DEP_3)
	v_exp_f32_e32 v19, v19
	v_div_scale_f32 v22, vcc_lo, v17, v86, v17
	v_fmac_f32_e32 v80, v81, v80
	s_delay_alu instid0(VALU_DEP_1) | instskip(SKIP_3) | instid1(VALU_DEP_2)
	v_mul_f32_e32 v25, v22, v80
	s_waitcnt_depctr 0xfff
	v_ldexp_f32 v19, v19, v20
	v_fma_f32 v97, -v71, v25, v22
	v_cndmask_b32_e64 v19, 0, v19, s10
	s_delay_alu instid0(VALU_DEP_2) | instskip(NEXT) | instid1(VALU_DEP_2)
	v_fmac_f32_e32 v25, v97, v80
	v_cndmask_b32_e64 v19, 0x7f800000, v19, s11
	s_delay_alu instid0(VALU_DEP_1) | instskip(SKIP_1) | instid1(VALU_DEP_2)
	v_dual_mul_f32 v24, 0x40490fdb, v19 :: v_dual_sub_f32 v19, v96, v69
	v_div_scale_f32 v81, null, v86, v86, v82
	v_div_scale_f32 v97, null, v86, v86, v24
	s_delay_alu instid0(VALU_DEP_2) | instskip(SKIP_2) | instid1(VALU_DEP_1)
	v_rcp_f32_e32 v87, v81
	s_waitcnt_depctr 0xfff
	v_fma_f32 v20, -v81, v87, 1.0
	v_dual_fmac_f32 v87, v20, v87 :: v_dual_sub_f32 v20, v85, v70
	v_mul_f32_e32 v14, v68, v6
	s_delay_alu instid0(VALU_DEP_1) | instskip(SKIP_3) | instid1(VALU_DEP_3)
	v_fmac_f32_e32 v14, v67, v21
	v_fma_f32 v21, -v71, v25, v22
	v_div_scale_f32 v71, s10, v82, v86, v82
	v_mul_f32_e32 v22, v68, v19
	v_div_fmas_f32 v21, v21, v80, v25
	s_delay_alu instid0(VALU_DEP_3) | instskip(SKIP_1) | instid1(VALU_DEP_2)
	v_mul_f32_e32 v80, v71, v87
	s_mov_b32 vcc_lo, s10
	v_div_fixup_f32 v17, v21, v86, v17
	v_sub_f32_e32 v21, v96, v70
	s_delay_alu instid0(VALU_DEP_3) | instskip(SKIP_2) | instid1(VALU_DEP_2)
	v_fma_f32 v25, -v81, v80, v71
	v_rcp_f32_e32 v96, v97
	v_dual_sub_f32 v70, v85, v69 :: v_dual_add_nc_u32 v69, v52, v36
	v_dual_mul_f32 v21, v68, v21 :: v_dual_fmac_f32 v80, v25, v87
	s_delay_alu instid0(VALU_DEP_2) | instskip(NEXT) | instid1(VALU_DEP_3)
	v_dual_fmac_f32 v22, v67, v70 :: v_dual_add_nc_u32 v25, v29, v49
	v_cmp_lt_i32_e64 s11, 0, v69
	v_cmp_lt_i32_e64 s13, 1, v69
	s_delay_alu instid0(VALU_DEP_4) | instskip(NEXT) | instid1(TRANS32_DEP_1)
	v_fma_f32 v71, -v81, v80, v71
	v_fma_f32 v70, -v97, v96, 1.0
	v_add_nc_u32_e32 v81, v53, v37
	v_cmp_lt_i32_e64 s10, 0, v25
	v_cmp_lt_i32_e64 s12, 1, v25
	v_div_fmas_f32 v71, v71, v87, v80
	v_fmac_f32_e32 v96, v70, v96
	v_div_scale_f32 v85, vcc_lo, v24, v86, v24
	v_fmac_f32_e32 v12, v67, v5
	s_delay_alu instid0(VALU_DEP_4) | instskip(SKIP_1) | instid1(VALU_DEP_4)
	v_div_fixup_f32 v70, v71, v86, v82
	v_add_nc_u32_e32 v71, v32, v50
	v_mul_f32_e32 v87, v85, v96
	v_cmp_lt_i32_e64 s21, 0, v81
	v_sub_f32_e32 v82, v84, v66
	s_and_b32 s39, s10, s11
	v_cmp_lt_i32_e64 s20, 0, v71
	v_fma_f32 v80, -v97, v87, v85
	v_sub_f32_e32 v66, v83, v66
	v_mul_f32_e32 v82, v68, v82
	v_cmp_lt_i32_e64 s22, 1, v71
	s_and_b32 s40, s20, s21
	v_fmac_f32_e32 v87, v80, v96
	v_sub_f32_e32 v80, v84, v65
	v_sub_f32_e32 v65, v83, v65
	s_add_i32 s42, s32, 32
	v_fmac_f32_e32 v21, v67, v20
	v_fma_f32 v84, -v97, v87, v85
	v_mul_f32_e32 v68, v68, v80
	s_add_i32 s41, s42, 56
	s_add_i32 s43, s32, 32
	v_fmac_f32_e32 v82, v67, v66
	v_div_fmas_f32 v83, v84, v96, v87
	v_fmac_f32_e32 v68, v67, v65
	v_cmp_lt_i32_e64 s23, 1, v81
	s_or_b32 s42, s43, 8
	v_add_nc_u32_e32 v67, -1, v28
	v_div_fixup_f32 v65, v83, v86, v24
	v_add_nc_u32_e32 v83, -1, v51
	v_add_nc_u32_e32 v84, -1, v29
	;; [unrolled: 1-line block ×4, first 2 shown]
	v_dual_mov_b32 v24, 0 :: v_dual_add_nc_u32 v87, -1, v53
	s_add_i32 s44, s32, 32
	s_delay_alu instid0(SALU_CYCLE_1)
	s_add_i32 s43, s44, 36
	s_mov_b32 s44, 0x3e76c4e1
	s_branch .LBB0_50
.LBB0_48:                               ;   in Loop: Header=BB0_50 Depth=1
	s_or_b32 exec_lo, exec_lo, s47
.LBB0_49:                               ;   in Loop: Header=BB0_50 Depth=1
	s_delay_alu instid0(SALU_CYCLE_1)
	s_or_b32 exec_lo, exec_lo, s46
	s_lshl_b32 vcc_lo, s45, 2
	v_mul_f32_e32 v96, v96, v101
	s_add_i32 vcc_lo, vcc_lo, s32
	scratch_load_b32 v98, off, vcc_lo
	v_cmp_eq_u32_e32 vcc_lo, s45, v64
	v_mul_f32_e32 v96, v96, v97
	s_add_i32 s45, s45, 1
	s_or_b32 s37, vcc_lo, s37
	s_waitcnt vmcnt(0)
	s_delay_alu instid0(VALU_DEP_1)
	v_fmac_f32_e32 v24, v96, v98
	s_and_not1_b32 exec_lo, exec_lo, s37
	s_cbranch_execz .LBB0_366
.LBB0_50:                               ; =>This Loop Header: Depth=1
                                        ;     Child Loop BB0_56 Depth 2
                                        ;     Child Loop BB0_59 Depth 2
                                        ;     Child Loop BB0_63 Depth 2
                                        ;       Child Loop BB0_65 Depth 3
                                        ;     Child Loop BB0_69 Depth 2
                                        ;       Child Loop BB0_72 Depth 3
                                        ;         Child Loop BB0_74 Depth 4
                                        ;         Child Loop BB0_78 Depth 4
                                        ;         Child Loop BB0_81 Depth 4
                                        ;       Child Loop BB0_85 Depth 3
                                        ;       Child Loop BB0_90 Depth 3
                                        ;       Child Loop BB0_93 Depth 3
                                        ;     Child Loop BB0_102 Depth 2
                                        ;     Child Loop BB0_105 Depth 2
                                        ;     Child Loop BB0_109 Depth 2
                                        ;       Child Loop BB0_111 Depth 3
                                        ;     Child Loop BB0_115 Depth 2
                                        ;       Child Loop BB0_118 Depth 3
                                        ;         Child Loop BB0_120 Depth 4
                                        ;         Child Loop BB0_124 Depth 4
                                        ;         Child Loop BB0_127 Depth 4
                                        ;       Child Loop BB0_131 Depth 3
                                        ;       Child Loop BB0_136 Depth 3
                                        ;       Child Loop BB0_139 Depth 3
	;; [unrolled: 12-line block ×3, first 2 shown]
	s_cmp_eq_u32 s45, 1
	scratch_store_b32 off, v17, s32 offset:32
	s_cselect_b32 vcc_lo, -1, 0
	s_cmp_eq_u32 s45, 2
	v_cndmask_b32_e32 v96, v0, v7, vcc_lo
	s_cselect_b32 vcc_lo, -1, 0
	s_cmp_eq_u32 s45, 3
	s_delay_alu instid0(VALU_DEP_1) | instskip(SKIP_2) | instid1(VALU_DEP_1)
	v_cndmask_b32_e32 v96, v96, v13, vcc_lo
	s_cselect_b32 vcc_lo, -1, 0
	s_cmp_eq_u32 s45, 4
	v_cndmask_b32_e32 v96, v96, v18, vcc_lo
	s_cselect_b32 vcc_lo, -1, 0
	s_cmp_eq_u32 s45, 5
	s_delay_alu instid0(VALU_DEP_1) | instskip(SKIP_2) | instid1(VALU_DEP_1)
	v_cndmask_b32_e32 v96, v96, v23, vcc_lo
	s_cselect_b32 vcc_lo, -1, 0
	s_cmp_eq_u32 s45, 6
	v_cndmask_b32_e32 v96, v96, v5, vcc_lo
	s_cselect_b32 vcc_lo, -1, 0
	s_delay_alu instid0(VALU_DEP_1) | instskip(NEXT) | instid1(VALU_DEP_1)
	v_cndmask_b32_e32 v96, v96, v6, vcc_lo
	v_add_f32_e32 v97, 1.0, v96
	v_mul_f32_e32 v96, 0.5, v96
	s_delay_alu instid0(VALU_DEP_2) | instskip(NEXT) | instid1(VALU_DEP_2)
	v_div_scale_f32 v98, null, v97, v97, 1.0
	v_div_scale_f32 v99, null, v54, v54, v96
	v_div_scale_f32 v112, vcc_lo, 1.0, v97, 1.0
	s_delay_alu instid0(VALU_DEP_3) | instskip(NEXT) | instid1(VALU_DEP_2)
	v_rcp_f32_e32 v100, v98
	v_rcp_f32_e32 v101, v99
	s_waitcnt_depctr 0xfff
	v_fma_f32 v102, -v98, v100, 1.0
	v_fma_f32 v103, -v99, v101, 1.0
	s_delay_alu instid0(VALU_DEP_2) | instskip(SKIP_1) | instid1(VALU_DEP_3)
	v_fmac_f32_e32 v100, v102, v100
	v_div_scale_f32 v102, vcc_hi, v96, v54, v96
	v_fmac_f32_e32 v101, v103, v101
	s_delay_alu instid0(VALU_DEP_3) | instskip(NEXT) | instid1(VALU_DEP_2)
	v_mul_f32_e32 v103, v112, v100
	v_mul_f32_e32 v113, v102, v101
	s_delay_alu instid0(VALU_DEP_2) | instskip(NEXT) | instid1(VALU_DEP_2)
	v_fma_f32 v114, -v98, v103, v112
	v_fma_f32 v115, -v99, v113, v102
	s_delay_alu instid0(VALU_DEP_2) | instskip(NEXT) | instid1(VALU_DEP_2)
	v_fmac_f32_e32 v103, v114, v100
	v_fmac_f32_e32 v113, v115, v101
	s_delay_alu instid0(VALU_DEP_2) | instskip(NEXT) | instid1(VALU_DEP_2)
	v_fma_f32 v98, -v98, v103, v112
	v_fma_f32 v99, -v99, v113, v102
	s_delay_alu instid0(VALU_DEP_2) | instskip(SKIP_1) | instid1(VALU_DEP_2)
	v_div_fmas_f32 v98, v98, v100, v103
	s_mov_b32 vcc_lo, vcc_hi
	v_div_fmas_f32 v99, v99, v101, v113
	s_delay_alu instid0(VALU_DEP_2) | instskip(NEXT) | instid1(VALU_DEP_2)
	v_div_fixup_f32 v100, v98, v97, 1.0
	v_div_fixup_f32 v96, v99, v54, v96
	s_delay_alu instid0(VALU_DEP_1) | instskip(NEXT) | instid1(VALU_DEP_1)
	v_mul_f32_e32 v97, v96, v100
	v_dual_mul_f32 v96, v5, v100 :: v_dual_mul_f32 v101, v12, v97
	s_delay_alu instid0(VALU_DEP_1) | instskip(NEXT) | instid1(VALU_DEP_2)
	v_cvt_f64_f32_e32 v[98:99], v96
	v_cvt_f64_f32_e32 v[101:102], v101
	s_delay_alu instid0(VALU_DEP_1) | instskip(NEXT) | instid1(VALU_DEP_1)
	v_fma_f64 v[98:99], v[101:102], 2.0, v[98:99]
	v_cvt_f32_f64_e32 v98, v[98:99]
	s_and_saveexec_b32 vcc_lo, s4
	s_cbranch_execz .LBB0_52
; %bb.51:                               ;   in Loop: Header=BB0_50 Depth=1
	s_delay_alu instid0(VALU_DEP_1)
	v_mul_f32_e32 v96, v17, v98
	scratch_store_b32 off, v96, s32 offset:60
.LBB0_52:                               ;   in Loop: Header=BB0_50 Depth=1
	s_or_b32 exec_lo, exec_lo, vcc_lo
	v_mul_f32_e32 v96, v6, v100
	v_mul_f32_e32 v99, v14, v97
	s_delay_alu instid0(VALU_DEP_2) | instskip(NEXT) | instid1(VALU_DEP_2)
	v_cvt_f64_f32_e32 v[101:102], v96
	v_cvt_f64_f32_e32 v[112:113], v99
	s_delay_alu instid0(VALU_DEP_1) | instskip(NEXT) | instid1(VALU_DEP_1)
	v_fma_f64 v[101:102], v[112:113], 2.0, v[101:102]
	v_cvt_f32_f64_e32 v96, v[101:102]
	s_and_saveexec_b32 vcc_lo, s5
	s_cbranch_execz .LBB0_54
; %bb.53:                               ;   in Loop: Header=BB0_50 Depth=1
	s_delay_alu instid0(VALU_DEP_1)
	v_mul_f32_e32 v99, v17, v96
	scratch_store_b32 off, v99, s32 offset:36
.LBB0_54:                               ;   in Loop: Header=BB0_50 Depth=1
	s_or_b32 exec_lo, exec_lo, vcc_lo
	v_fma_f32 v99, v15, v100, v97
	s_and_saveexec_b32 vcc_hi, s6
	s_cbranch_execz .LBB0_57
; %bb.55:                               ;   in Loop: Header=BB0_50 Depth=1
	scratch_load_b32 v101, off, s32 offset:60
	s_mov_b32 s30, 1
	s_mov_b32 s31, 0
	;; [unrolled: 1-line block ×3, first 2 shown]
.LBB0_56:                               ;   Parent Loop BB0_50 Depth=1
                                        ; =>  This Inner Loop Header: Depth=2
	scratch_load_b32 v102, off, s34 offset:-56
	v_cvt_f32_i32_e32 v103, s30
	s_add_i32 s30, s30, 1
	s_delay_alu instid0(SALU_CYCLE_1) | instskip(NEXT) | instid1(VALU_DEP_2)
	v_cmp_eq_u32_e32 vcc_lo, s30, v3
	v_mul_f32_e32 v103, v99, v103
	s_waitcnt vmcnt(0)
	s_delay_alu instid0(VALU_DEP_1) | instskip(NEXT) | instid1(VALU_DEP_1)
	v_mul_f32_e32 v102, v102, v103
	v_fmac_f32_e32 v102, v101, v98
	s_delay_alu instid0(VALU_DEP_1) | instskip(SKIP_3) | instid1(SALU_CYCLE_1)
	v_mov_b32_e32 v101, v102
	scratch_store_b32 off, v102, s34
	s_add_i32 s34, s34, 28
	s_or_b32 s31, vcc_lo, s31
	s_and_not1_b32 exec_lo, exec_lo, s31
	s_cbranch_execnz .LBB0_56
.LBB0_57:                               ;   in Loop: Header=BB0_50 Depth=1
	s_or_b32 exec_lo, exec_lo, vcc_hi
	v_fma_f32 v98, v16, v100, v97
	s_and_saveexec_b32 vcc_hi, s7
	s_cbranch_execz .LBB0_60
; %bb.58:                               ;   in Loop: Header=BB0_50 Depth=1
	scratch_load_b32 v101, off, s32 offset:36
	v_mov_b32_e32 v102, v17
	s_mov_b32 s30, 1
	s_mov_b32 s31, 0
	;; [unrolled: 1-line block ×3, first 2 shown]
.LBB0_59:                               ;   Parent Loop BB0_50 Depth=1
                                        ; =>  This Inner Loop Header: Depth=2
	v_cvt_f32_i32_e32 v103, s30
	s_add_i32 s30, s30, 1
	s_waitcnt vmcnt(0)
	v_mov_b32_e32 v112, v101
	v_cmp_eq_u32_e32 vcc_lo, s30, v4
	v_mul_f32_e32 v103, v98, v103
	s_delay_alu instid0(VALU_DEP_1) | instskip(NEXT) | instid1(VALU_DEP_1)
	v_dual_mul_f32 v101, v102, v103 :: v_dual_mov_b32 v102, v112
	v_fmac_f32_e32 v101, v112, v96
	scratch_store_b32 off, v101, s34
	s_add_i32 s34, s34, 4
	s_or_b32 s31, vcc_lo, s31
	s_delay_alu instid0(SALU_CYCLE_1)
	s_and_not1_b32 exec_lo, exec_lo, s31
	s_cbranch_execnz .LBB0_59
.LBB0_60:                               ;   in Loop: Header=BB0_50 Depth=1
	s_or_b32 exec_lo, exec_lo, vcc_hi
	s_and_saveexec_b32 vcc_hi, s38
	s_cbranch_execz .LBB0_66
; %bb.61:                               ;   in Loop: Header=BB0_50 Depth=1
	s_mov_b32 s34, 1
	s_mov_b32 s30, 0
	;; [unrolled: 1-line block ×3, first 2 shown]
	s_set_inst_prefetch_distance 0x1
	s_branch .LBB0_63
	.p2align	6
.LBB0_62:                               ;   in Loop: Header=BB0_63 Depth=2
	s_or_b32 exec_lo, exec_lo, s35
	v_cmp_eq_u32_e32 vcc_lo, s34, v3
	s_add_i32 s34, s34, 1
	s_add_i32 s31, s31, 28
	s_or_b32 s30, vcc_lo, s30
	s_delay_alu instid0(SALU_CYCLE_1)
	s_and_not1_b32 exec_lo, exec_lo, s30
	s_cbranch_execz .LBB0_66
.LBB0_63:                               ;   Parent Loop BB0_50 Depth=1
                                        ; =>  This Loop Header: Depth=2
                                        ;       Child Loop BB0_65 Depth 3
	s_mul_i32 vcc_lo, s34, 28
	s_add_i32 s35, s32, 32
	v_cvt_f32_u32_e32 v101, s34
	s_add_i32 vcc_lo, vcc_lo, s35
	s_clause 0x1
	scratch_load_b32 v103, off, vcc_lo
	scratch_load_b32 v112, off, vcc_lo offset:-28
	s_waitcnt vmcnt(1)
	v_dual_mul_f32 v101, v97, v101 :: v_dual_mul_f32 v102, v103, v96
	s_waitcnt vmcnt(0)
	s_delay_alu instid0(VALU_DEP_1)
	v_fmac_f32_e32 v102, v112, v101
	scratch_store_b32 off, v102, vcc_lo offset:4
	s_and_saveexec_b32 s35, s7
	s_cbranch_execz .LBB0_62
; %bb.64:                               ;   in Loop: Header=BB0_63 Depth=2
	s_mov_b32 s46, 1
	s_mov_b32 s47, 0
	;; [unrolled: 1-line block ×3, first 2 shown]
	.p2align	6
.LBB0_65:                               ;   Parent Loop BB0_50 Depth=1
                                        ;     Parent Loop BB0_63 Depth=2
                                        ; =>    This Inner Loop Header: Depth=3
	scratch_load_b32 v112, off, s48 offset:-32
	v_cvt_f32_i32_e32 v113, s46
	v_mov_b32_e32 v114, v102
	s_add_i32 s46, s46, 1
	s_delay_alu instid0(SALU_CYCLE_1) | instskip(NEXT) | instid1(VALU_DEP_3)
	v_cmp_eq_u32_e32 vcc_lo, s46, v4
	v_mul_f32_e32 v113, v98, v113
	s_delay_alu instid0(VALU_DEP_1) | instskip(SKIP_1) | instid1(VALU_DEP_1)
	v_dual_mul_f32 v102, v103, v113 :: v_dual_mov_b32 v103, v114
	s_waitcnt vmcnt(0)
	v_fmac_f32_e32 v102, v101, v112
	s_delay_alu instid0(VALU_DEP_1) | instskip(SKIP_3) | instid1(SALU_CYCLE_1)
	v_fmac_f32_e32 v102, v114, v96
	scratch_store_b32 off, v102, s48
	s_add_i32 s48, s48, 4
	s_or_b32 s47, vcc_lo, s47
	s_and_not1_b32 exec_lo, exec_lo, s47
	s_cbranch_execnz .LBB0_65
	s_branch .LBB0_62
.LBB0_66:                               ;   in Loop: Header=BB0_50 Depth=1
	s_set_inst_prefetch_distance 0x2
	s_or_b32 exec_lo, exec_lo, vcc_hi
	v_mov_b32_e32 v96, 0
	s_and_saveexec_b32 s46, s0
	s_cbranch_execz .LBB0_96
; %bb.67:                               ;   in Loop: Header=BB0_50 Depth=1
	v_dual_mov_b32 v96, 0 :: v_dual_mov_b32 v101, v83
	s_mov_b32 s47, 0
	s_mov_b32 s48, 0
	s_branch .LBB0_69
.LBB0_68:                               ;   in Loop: Header=BB0_69 Depth=2
	s_or_b32 exec_lo, exec_lo, vcc_hi
	v_cvt_f32_i32_e32 v113, v113
	v_mul_lo_u32 v112, v112, s30
	v_sub_nc_u32_e32 v135, 0, v103
	v_add_nc_u32_e32 v101, -1, v101
	s_delay_alu instid0(VALU_DEP_4) | instskip(NEXT) | instid1(VALU_DEP_3)
	v_cndmask_b32_e64 v115, v113, 1.0, s9
	v_max_i32_e32 v135, v103, v135
	v_xor_b32_e32 v103, v103, v112
	s_delay_alu instid0(VALU_DEP_3) | instskip(NEXT) | instid1(VALU_DEP_2)
	v_cmp_eq_f32_e32 vcc_lo, 0, v115
	v_ashrrev_i32_e32 v103, 31, v103
	v_cndmask_b32_e64 v116, |v1|, 1.0, vcc_lo
	s_delay_alu instid0(VALU_DEP_1) | instskip(NEXT) | instid1(VALU_DEP_1)
	v_frexp_mant_f32_e32 v113, v116
	v_cmp_gt_f32_e64 vcc_hi, 0x3f2aaaab, v113
	s_delay_alu instid0(VALU_DEP_1) | instskip(NEXT) | instid1(VALU_DEP_1)
	v_cndmask_b32_e64 v114, 1.0, 2.0, vcc_hi
	v_mul_f32_e32 v113, v113, v114
	s_delay_alu instid0(VALU_DEP_1) | instskip(SKIP_1) | instid1(VALU_DEP_2)
	v_add_f32_e32 v114, 1.0, v113
	v_add_f32_e32 v118, -1.0, v113
	v_add_f32_e32 v128, -1.0, v114
	s_delay_alu instid0(VALU_DEP_1) | instskip(SKIP_3) | instid1(VALU_DEP_1)
	v_sub_f32_e32 v113, v113, v128
	v_rcp_f32_e32 v117, v114
	s_waitcnt_depctr 0xfff
	v_mul_f32_e32 v119, v118, v117
	v_mul_f32_e32 v129, v114, v119
	s_delay_alu instid0(VALU_DEP_1) | instskip(NEXT) | instid1(VALU_DEP_1)
	v_fma_f32 v114, v119, v114, -v129
	v_fmac_f32_e32 v114, v119, v113
	s_delay_alu instid0(VALU_DEP_1) | instskip(NEXT) | instid1(VALU_DEP_1)
	v_add_f32_e32 v113, v129, v114
	v_sub_f32_e32 v128, v118, v113
	s_delay_alu instid0(VALU_DEP_1) | instskip(NEXT) | instid1(VALU_DEP_1)
	v_dual_sub_f32 v129, v113, v129 :: v_dual_sub_f32 v118, v118, v128
	v_dual_sub_f32 v114, v129, v114 :: v_dual_sub_f32 v113, v118, v113
	s_delay_alu instid0(VALU_DEP_1) | instskip(NEXT) | instid1(VALU_DEP_1)
	v_add_f32_e32 v113, v114, v113
	v_add_f32_e32 v113, v128, v113
	s_delay_alu instid0(VALU_DEP_1) | instskip(NEXT) | instid1(VALU_DEP_1)
	v_mul_f32_e32 v113, v117, v113
	v_add_f32_e32 v117, v119, v113
	s_delay_alu instid0(VALU_DEP_1) | instskip(NEXT) | instid1(VALU_DEP_1)
	v_sub_f32_e32 v114, v117, v119
	v_sub_f32_e32 v119, v113, v114
	s_delay_alu instid0(VALU_DEP_1) | instskip(NEXT) | instid1(VALU_DEP_1)
	v_dual_mul_f32 v118, v117, v117 :: v_dual_add_f32 v113, v119, v119
	v_fma_f32 v128, v117, v117, -v118
	s_delay_alu instid0(VALU_DEP_1) | instskip(SKIP_1) | instid1(VALU_DEP_2)
	v_fmac_f32_e32 v128, v117, v113
	v_cvt_f64_f32_e32 v[113:114], v116
	v_add_f32_e32 v129, v118, v128
	s_delay_alu instid0(VALU_DEP_1) | instskip(SKIP_1) | instid1(VALU_DEP_2)
	v_fmaak_f32 v130, s44, v129, 0x3e91f4c4
	v_sub_f32_e32 v118, v129, v118
	v_fmaak_f32 v130, v129, v130, 0x3ecccdef
	s_delay_alu instid0(VALU_DEP_2) | instskip(NEXT) | instid1(VALU_DEP_2)
	v_sub_f32_e32 v118, v128, v118
	v_mul_f32_e32 v131, v129, v130
	s_delay_alu instid0(VALU_DEP_1) | instskip(NEXT) | instid1(VALU_DEP_1)
	v_fma_f32 v128, v129, v130, -v131
	v_dual_fmac_f32 v128, v118, v130 :: v_dual_mul_f32 v133, v117, v129
	s_delay_alu instid0(VALU_DEP_1) | instskip(SKIP_1) | instid1(VALU_DEP_2)
	v_add_f32_e32 v130, v131, v128
	v_frexp_exp_i32_f64_e32 v113, v[113:114]
	v_sub_f32_e32 v131, v130, v131
	s_delay_alu instid0(VALU_DEP_1) | instskip(SKIP_1) | instid1(VALU_DEP_1)
	v_sub_f32_e32 v114, v128, v131
	v_fma_f32 v131, v129, v117, -v133
	v_dual_add_f32 v132, 0x3f2aaaaa, v130 :: v_dual_fmac_f32 v131, v129, v119
	s_delay_alu instid0(VALU_DEP_1) | instskip(SKIP_1) | instid1(VALU_DEP_3)
	v_add_f32_e32 v128, 0xbf2aaaaa, v132
	v_ldexp_f32 v119, v119, 1
	v_dual_fmac_f32 v131, v118, v117 :: v_dual_add_f32 v114, 0x31739010, v114
	s_delay_alu instid0(VALU_DEP_3) | instskip(NEXT) | instid1(VALU_DEP_1)
	v_sub_f32_e32 v128, v130, v128
	v_add_f32_e32 v114, v114, v128
	s_delay_alu instid0(VALU_DEP_1) | instskip(NEXT) | instid1(VALU_DEP_1)
	v_add_f32_e32 v118, v132, v114
	v_sub_f32_e32 v129, v132, v118
	v_subrev_co_ci_u32_e64 v113, vcc_hi, 0, v113, vcc_hi
	s_delay_alu instid0(VALU_DEP_2) | instskip(NEXT) | instid1(VALU_DEP_2)
	v_add_f32_e32 v114, v114, v129
	v_cvt_f32_i32_e32 v113, v113
	v_add_f32_e32 v128, v133, v131
	s_delay_alu instid0(VALU_DEP_1) | instskip(SKIP_1) | instid1(VALU_DEP_2)
	v_mul_f32_e32 v130, v128, v118
	v_sub_f32_e32 v132, v128, v133
	v_fma_f32 v129, v128, v118, -v130
	s_delay_alu instid0(VALU_DEP_2) | instskip(NEXT) | instid1(VALU_DEP_2)
	v_sub_f32_e32 v131, v131, v132
	v_fmac_f32_e32 v129, v128, v114
	v_ldexp_f32 v114, v117, 1
	s_delay_alu instid0(VALU_DEP_2) | instskip(NEXT) | instid1(VALU_DEP_1)
	v_fmac_f32_e32 v129, v131, v118
	v_add_f32_e32 v117, v130, v129
	s_delay_alu instid0(VALU_DEP_1) | instskip(SKIP_2) | instid1(VALU_DEP_3)
	v_add_f32_e32 v118, v114, v117
	v_sub_f32_e32 v128, v117, v130
	v_mul_f32_e32 v130, 0x3f317218, v113
	v_sub_f32_e32 v114, v118, v114
	s_delay_alu instid0(VALU_DEP_3) | instskip(NEXT) | instid1(VALU_DEP_3)
	v_sub_f32_e32 v128, v129, v128
	v_fma_f32 v129, 0x3f317218, v113, -v130
	s_delay_alu instid0(VALU_DEP_2) | instskip(NEXT) | instid1(VALU_DEP_2)
	v_dual_sub_f32 v114, v117, v114 :: v_dual_add_f32 v117, v119, v128
	v_fmac_f32_e32 v129, 0xb102e308, v113
	s_delay_alu instid0(VALU_DEP_2) | instskip(NEXT) | instid1(VALU_DEP_1)
	v_add_f32_e32 v113, v117, v114
	v_add_f32_e32 v117, v118, v113
	s_delay_alu instid0(VALU_DEP_1) | instskip(NEXT) | instid1(VALU_DEP_1)
	v_sub_f32_e32 v118, v117, v118
	v_dual_sub_f32 v113, v113, v118 :: v_dual_add_f32 v114, v130, v129
	s_delay_alu instid0(VALU_DEP_1) | instskip(NEXT) | instid1(VALU_DEP_1)
	v_sub_f32_e32 v130, v114, v130
	v_sub_f32_e32 v129, v129, v130
	v_add_f32_e32 v119, v114, v117
	s_delay_alu instid0(VALU_DEP_2) | instskip(NEXT) | instid1(VALU_DEP_2)
	v_add_f32_e32 v118, v129, v113
	v_sub_f32_e32 v128, v119, v114
	s_delay_alu instid0(VALU_DEP_1) | instskip(NEXT) | instid1(VALU_DEP_1)
	v_sub_f32_e32 v131, v119, v128
	v_dual_sub_f32 v117, v117, v128 :: v_dual_sub_f32 v114, v114, v131
	s_delay_alu instid0(VALU_DEP_1) | instskip(NEXT) | instid1(VALU_DEP_1)
	v_dual_add_f32 v114, v117, v114 :: v_dual_sub_f32 v117, v118, v129
	v_add_f32_e32 v114, v118, v114
	s_delay_alu instid0(VALU_DEP_2) | instskip(NEXT) | instid1(VALU_DEP_2)
	v_sub_f32_e32 v118, v118, v117
	v_dual_sub_f32 v113, v113, v117 :: v_dual_add_f32 v128, v119, v114
	s_delay_alu instid0(VALU_DEP_1) | instskip(NEXT) | instid1(VALU_DEP_1)
	v_dual_sub_f32 v117, v129, v118 :: v_dual_sub_f32 v118, v128, v119
	v_add_f32_e32 v113, v113, v117
	v_sub_nc_u32_e32 v119, 0, v112
	s_delay_alu instid0(VALU_DEP_3) | instskip(NEXT) | instid1(VALU_DEP_1)
	v_sub_f32_e32 v114, v114, v118
	v_add_f32_e32 v113, v113, v114
	s_delay_alu instid0(VALU_DEP_1) | instskip(NEXT) | instid1(VALU_DEP_1)
	v_add_f32_e32 v114, v128, v113
	v_dual_sub_f32 v117, v114, v128 :: v_dual_mul_f32 v118, v115, v114
	s_delay_alu instid0(VALU_DEP_1) | instskip(NEXT) | instid1(VALU_DEP_2)
	v_sub_f32_e32 v113, v113, v117
	v_fma_f32 v114, v115, v114, -v118
	v_max_i32_e32 v117, v112, v119
	v_cmp_class_f32_e64 vcc_hi, v118, 0x204
	v_trunc_f32_e32 v112, v115
	s_delay_alu instid0(VALU_DEP_4) | instskip(NEXT) | instid1(VALU_DEP_4)
	v_fmac_f32_e32 v114, v115, v113
	v_cvt_f32_u32_e32 v113, v117
	v_sub_nc_u32_e32 v130, 0, v117
	s_delay_alu instid0(VALU_DEP_3) | instskip(NEXT) | instid1(VALU_DEP_3)
	v_add_f32_e32 v119, v118, v114
	v_rcp_iflag_f32_e32 v113, v113
	s_delay_alu instid0(VALU_DEP_1) | instskip(NEXT) | instid1(VALU_DEP_1)
	v_cndmask_b32_e64 v128, v119, v118, vcc_hi
	v_cmp_eq_f32_e64 vcc_hi, 0x42b17218, v128
	s_waitcnt_depctr 0xfff
	v_mul_f32_e32 v113, 0x4f7ffffe, v113
	v_cmp_neq_f32_e64 s30, 0x7f800000, |v128|
	v_cndmask_b32_e64 v129, 0, 0x37000000, vcc_hi
	s_delay_alu instid0(VALU_DEP_3) | instskip(SKIP_1) | instid1(VALU_DEP_3)
	v_cvt_u32_f32_e32 v113, v113
	v_cmp_gt_f32_e64 vcc_hi, 0, v115
	v_sub_f32_e32 v131, v128, v129
	s_delay_alu instid0(VALU_DEP_3) | instskip(NEXT) | instid1(VALU_DEP_2)
	v_mul_lo_u32 v130, v130, v113
	v_mul_f32_e32 v132, 0x3fb8aa3b, v131
	v_sub_f32_e32 v118, v119, v118
	s_delay_alu instid0(VALU_DEP_3) | instskip(NEXT) | instid1(VALU_DEP_3)
	v_mul_hi_u32 v130, v113, v130
	v_fma_f32 v133, 0x3fb8aa3b, v131, -v132
	v_rndne_f32_e32 v134, v132
	s_delay_alu instid0(VALU_DEP_1) | instskip(NEXT) | instid1(VALU_DEP_4)
	v_dual_fmac_f32 v133, 0x32a5705f, v131 :: v_dual_sub_f32 v132, v132, v134
	v_add_nc_u32_e32 v113, v113, v130
	v_cvt_i32_f32_e32 v119, v134
	v_mul_f32_e32 v130, 0.5, v115
	s_delay_alu instid0(VALU_DEP_4) | instskip(NEXT) | instid1(VALU_DEP_4)
	v_add_f32_e32 v132, v132, v133
	v_mul_hi_u32 v113, v135, v113
	v_cndmask_b32_e64 v133, v1, 1.0, vcc_lo
	v_cmp_eq_f32_e32 vcc_lo, v112, v115
	v_sub_f32_e32 v112, v114, v118
	v_exp_f32_e32 v132, v132
	v_trunc_f32_e32 v118, v130
	v_cmp_eq_f32_e64 s31, 0, v133
	s_delay_alu instid0(VALU_DEP_3) | instskip(SKIP_2) | instid1(VALU_DEP_4)
	v_cndmask_b32_e64 v112, 0, v112, s30
	v_cmp_ngt_f32_e64 s30, 0xc2ce8ed0, v131
	v_mul_lo_u32 v114, v113, v117
	s_xor_b32 vcc_hi, vcc_hi, s31
	s_delay_alu instid0(VALU_DEP_3) | instskip(NEXT) | instid1(TRANS32_DEP_1)
	v_add_f32_e32 v112, v129, v112
	v_ldexp_f32 v115, v132, v119
	v_add_nc_u32_e32 v119, 1, v113
	s_delay_alu instid0(VALU_DEP_4) | instskip(NEXT) | instid1(VALU_DEP_3)
	v_sub_nc_u32_e32 v114, v135, v114
	v_cndmask_b32_e64 v115, 0, v115, s30
	v_cmp_nlt_f32_e64 s30, 0x42b17218, v131
	s_delay_alu instid0(VALU_DEP_3) | instskip(NEXT) | instid1(VALU_DEP_2)
	v_cmp_ge_u32_e64 s34, v114, v117
	v_cndmask_b32_e64 v115, 0x7f800000, v115, s30
	v_cmp_neq_f32_e64 s30, v118, v130
	v_sub_nc_u32_e32 v118, v114, v117
	s_delay_alu instid0(VALU_DEP_4) | instskip(NEXT) | instid1(VALU_DEP_4)
	v_cndmask_b32_e64 v113, v113, v119, s34
	v_fma_f32 v112, v115, v112, v115
	v_cmp_class_f32_e64 s35, v115, 0x204
	s_and_b32 s30, vcc_lo, s30
	v_cndmask_b32_e64 v114, v114, v118, s34
	v_cndmask_b32_e64 v119, 1.0, v133, s30
	v_cndmask_b32_e64 v118, 0x7f800000, 0, vcc_hi
	v_cndmask_b32_e64 v112, v112, v115, s35
	v_add_nc_u32_e32 v115, 1, v113
	v_cmp_ge_u32_e64 vcc_hi, v114, v117
	s_delay_alu instid0(VALU_DEP_3) | instskip(SKIP_1) | instid1(VALU_DEP_3)
	v_bfi_b32 v112, 0x7fffffff, v112, v119
	v_cndmask_b32_e64 v119, 0, v133, s30
	v_cndmask_b32_e64 v113, v113, v115, vcc_hi
	s_delay_alu instid0(VALU_DEP_3)
	v_cndmask_b32_e32 v114, 0x7fc00000, v112, vcc_lo
	v_cmp_eq_f32_e32 vcc_lo, 0x7f800000, v116
	v_cmp_gt_f32_e64 vcc_hi, 0, v133
	v_bfi_b32 v115, 0x7fffffff, v118, v119
	v_xor_b32_e32 v113, v113, v103
	s_or_b32 vcc_lo, vcc_lo, s31
	s_delay_alu instid0(VALU_DEP_3) | instskip(NEXT) | instid1(VALU_DEP_2)
	v_cndmask_b32_e64 v112, v112, v114, vcc_hi
	v_sub_nc_u32_e32 v103, v113, v103
	s_delay_alu instid0(VALU_DEP_2) | instskip(SKIP_1) | instid1(VALU_DEP_3)
	v_cndmask_b32_e32 v112, v112, v115, vcc_lo
	v_cmp_o_f32_e32 vcc_lo, v133, v133
	v_cvt_f32_i32_e32 v103, v103
	s_delay_alu instid0(VALU_DEP_3) | instskip(SKIP_2) | instid1(VALU_DEP_2)
	v_cndmask_b32_e32 v112, 0x7fc00000, v112, vcc_lo
	v_cmp_eq_u32_e32 vcc_lo, s48, v51
	s_add_i32 s48, s48, 1
	v_mul_f32_e32 v103, v112, v103
	s_or_b32 s47, vcc_lo, s47
	s_delay_alu instid0(VALU_DEP_1)
	v_fmac_f32_e32 v96, v102, v103
	s_and_not1_b32 exec_lo, exec_lo, s47
	s_cbranch_execz .LBB0_95
.LBB0_69:                               ;   Parent Loop BB0_50 Depth=1
                                        ; =>  This Loop Header: Depth=2
                                        ;       Child Loop BB0_72 Depth 3
                                        ;         Child Loop BB0_74 Depth 4
                                        ;         Child Loop BB0_78 Depth 4
	;; [unrolled: 1-line block ×3, first 2 shown]
                                        ;       Child Loop BB0_85 Depth 3
                                        ;       Child Loop BB0_90 Depth 3
	;; [unrolled: 1-line block ×3, first 2 shown]
	v_mov_b32_e32 v102, 0
	s_and_saveexec_b32 s49, s1
	s_cbranch_execz .LBB0_83
; %bb.70:                               ;   in Loop: Header=BB0_69 Depth=2
	v_dual_mov_b32 v102, 0 :: v_dual_add_nc_u32 v103, s48, v33
	s_mov_b32 s50, 0
	s_mov_b32 s51, 0
	s_delay_alu instid0(VALU_DEP_1)
	v_dual_mov_b32 v112, v67 :: v_dual_lshlrev_b32 v103, 2, v103
	s_branch .LBB0_72
.LBB0_71:                               ;   in Loop: Header=BB0_72 Depth=3
	s_or_b32 exec_lo, exec_lo, vcc_hi
	v_cvt_f32_i32_e32 v115, v115
	s_add_i32 s31, s32, 32
	v_mul_lo_u32 v114, v114, s30
	v_sub_nc_u32_e32 v146, 0, v113
	v_add_nc_u32_e32 v132, s51, v48
	v_cndmask_b32_e64 v117, v115, 1.0, s8
	v_add_nc_u32_e32 v112, -1, v112
	s_delay_alu instid0(VALU_DEP_4) | instskip(NEXT) | instid1(VALU_DEP_3)
	v_max_i32_e32 v146, v113, v146
	v_cmp_eq_f32_e32 vcc_lo, 0, v117
	v_xor_b32_e32 v113, v113, v114
	v_cndmask_b32_e64 v118, |v2|, 1.0, vcc_lo
	s_delay_alu instid0(VALU_DEP_2) | instskip(NEXT) | instid1(VALU_DEP_2)
	v_ashrrev_i32_e32 v113, 31, v113
	v_frexp_mant_f32_e32 v115, v118
	s_delay_alu instid0(VALU_DEP_1) | instskip(NEXT) | instid1(VALU_DEP_1)
	v_cmp_gt_f32_e64 vcc_hi, 0x3f2aaaab, v115
	v_cndmask_b32_e64 v116, 1.0, 2.0, vcc_hi
	s_delay_alu instid0(VALU_DEP_1) | instskip(NEXT) | instid1(VALU_DEP_1)
	v_mul_f32_e32 v115, v115, v116
	v_add_f32_e32 v116, 1.0, v115
	v_add_f32_e32 v128, -1.0, v115
	s_delay_alu instid0(VALU_DEP_2) | instskip(NEXT) | instid1(VALU_DEP_1)
	v_add_f32_e32 v130, -1.0, v116
	v_sub_f32_e32 v115, v115, v130
	v_rcp_f32_e32 v119, v116
	s_waitcnt_depctr 0xfff
	v_mul_f32_e32 v129, v128, v119
	s_delay_alu instid0(VALU_DEP_1) | instskip(NEXT) | instid1(VALU_DEP_1)
	v_mul_f32_e32 v131, v116, v129
	v_fma_f32 v116, v129, v116, -v131
	s_delay_alu instid0(VALU_DEP_1) | instskip(NEXT) | instid1(VALU_DEP_1)
	v_fmac_f32_e32 v116, v129, v115
	v_add_f32_e32 v115, v131, v116
	s_delay_alu instid0(VALU_DEP_1) | instskip(NEXT) | instid1(VALU_DEP_1)
	v_sub_f32_e32 v130, v128, v115
	v_dual_sub_f32 v131, v115, v131 :: v_dual_sub_f32 v128, v128, v130
	s_delay_alu instid0(VALU_DEP_1) | instskip(SKIP_1) | instid1(VALU_DEP_2)
	v_dual_sub_f32 v116, v131, v116 :: v_dual_sub_f32 v115, v128, v115
	v_mul_lo_u32 v128, v132, 28
	v_add_f32_e32 v115, v116, v115
	s_delay_alu instid0(VALU_DEP_2) | instskip(NEXT) | instid1(VALU_DEP_2)
	v_add3_u32 v116, s31, v128, v103
	v_add_f32_e32 v115, v130, v115
	s_delay_alu instid0(VALU_DEP_1) | instskip(SKIP_2) | instid1(VALU_DEP_1)
	v_mul_f32_e32 v115, v119, v115
	scratch_load_b32 v119, v116, off
	v_add_f32_e32 v128, v129, v115
	v_sub_f32_e32 v116, v128, v129
	s_delay_alu instid0(VALU_DEP_1) | instskip(NEXT) | instid1(VALU_DEP_1)
	v_sub_f32_e32 v130, v115, v116
	v_add_f32_e32 v115, v130, v130
	v_mul_f32_e32 v129, v128, v128
	s_delay_alu instid0(VALU_DEP_1) | instskip(NEXT) | instid1(VALU_DEP_1)
	v_fma_f32 v131, v128, v128, -v129
	v_fmac_f32_e32 v131, v128, v115
	v_cvt_f64_f32_e32 v[115:116], v118
	s_delay_alu instid0(VALU_DEP_2) | instskip(NEXT) | instid1(VALU_DEP_1)
	v_add_f32_e32 v132, v129, v131
	v_sub_f32_e32 v129, v132, v129
	s_delay_alu instid0(VALU_DEP_1) | instskip(SKIP_2) | instid1(VALU_DEP_2)
	v_sub_f32_e32 v129, v131, v129
	v_fmaak_f32 v133, s44, v132, 0x3e91f4c4
	v_mul_f32_e32 v144, v128, v132
	v_fmaak_f32 v133, v132, v133, 0x3ecccdef
	s_delay_alu instid0(VALU_DEP_1) | instskip(NEXT) | instid1(VALU_DEP_1)
	v_mul_f32_e32 v134, v132, v133
	v_fma_f32 v131, v132, v133, -v134
	s_delay_alu instid0(VALU_DEP_1) | instskip(SKIP_1) | instid1(VALU_DEP_2)
	v_fmac_f32_e32 v131, v129, v133
	v_frexp_exp_i32_f64_e32 v115, v[115:116]
	v_add_f32_e32 v133, v134, v131
	s_delay_alu instid0(VALU_DEP_1) | instskip(NEXT) | instid1(VALU_DEP_1)
	v_sub_f32_e32 v134, v133, v134
	v_sub_f32_e32 v116, v131, v134
	v_fma_f32 v134, v132, v128, -v144
	s_delay_alu instid0(VALU_DEP_2) | instskip(NEXT) | instid1(VALU_DEP_2)
	v_add_f32_e32 v116, 0x31739010, v116
	v_fmac_f32_e32 v134, v132, v130
	v_ldexp_f32 v130, v130, 1
	s_delay_alu instid0(VALU_DEP_2) | instskip(NEXT) | instid1(VALU_DEP_1)
	v_dual_fmac_f32 v134, v129, v128 :: v_dual_add_f32 v135, 0x3f2aaaaa, v133
	v_add_f32_e32 v131, 0xbf2aaaaa, v135
	s_delay_alu instid0(VALU_DEP_1) | instskip(SKIP_1) | instid1(VALU_DEP_2)
	v_sub_f32_e32 v131, v133, v131
	v_subrev_co_ci_u32_e64 v115, vcc_hi, 0, v115, vcc_hi
	v_add_f32_e32 v116, v116, v131
	s_delay_alu instid0(VALU_DEP_2) | instskip(NEXT) | instid1(VALU_DEP_2)
	v_cvt_f32_i32_e32 v115, v115
	v_add_f32_e32 v129, v135, v116
	s_delay_alu instid0(VALU_DEP_1) | instskip(NEXT) | instid1(VALU_DEP_1)
	v_dual_add_f32 v131, v144, v134 :: v_dual_sub_f32 v132, v135, v129
	v_sub_f32_e32 v135, v131, v144
	s_delay_alu instid0(VALU_DEP_2) | instskip(NEXT) | instid1(VALU_DEP_2)
	v_add_f32_e32 v116, v116, v132
	v_dual_sub_f32 v134, v134, v135 :: v_dual_mul_f32 v133, v131, v129
	s_delay_alu instid0(VALU_DEP_1) | instskip(NEXT) | instid1(VALU_DEP_1)
	v_fma_f32 v132, v131, v129, -v133
	v_fmac_f32_e32 v132, v131, v116
	v_ldexp_f32 v116, v128, 1
	s_delay_alu instid0(VALU_DEP_2) | instskip(NEXT) | instid1(VALU_DEP_1)
	v_fmac_f32_e32 v132, v134, v129
	v_add_f32_e32 v128, v133, v132
	s_delay_alu instid0(VALU_DEP_1) | instskip(NEXT) | instid1(VALU_DEP_1)
	v_add_f32_e32 v129, v116, v128
	v_dual_sub_f32 v116, v129, v116 :: v_dual_sub_f32 v131, v128, v133
	s_delay_alu instid0(VALU_DEP_1) | instskip(NEXT) | instid1(VALU_DEP_2)
	v_dual_mul_f32 v133, 0x3f317218, v115 :: v_dual_sub_f32 v116, v128, v116
	v_sub_f32_e32 v131, v132, v131
	s_delay_alu instid0(VALU_DEP_2) | instskip(NEXT) | instid1(VALU_DEP_2)
	v_fma_f32 v132, 0x3f317218, v115, -v133
	v_add_f32_e32 v128, v130, v131
	s_delay_alu instid0(VALU_DEP_1) | instskip(NEXT) | instid1(VALU_DEP_1)
	v_dual_fmac_f32 v132, 0xb102e308, v115 :: v_dual_add_f32 v115, v128, v116
	v_add_f32_e32 v116, v133, v132
	s_delay_alu instid0(VALU_DEP_1) | instskip(NEXT) | instid1(VALU_DEP_1)
	v_dual_add_f32 v128, v129, v115 :: v_dual_sub_f32 v133, v116, v133
	v_add_f32_e32 v130, v116, v128
	s_delay_alu instid0(VALU_DEP_1) | instskip(NEXT) | instid1(VALU_DEP_1)
	v_dual_sub_f32 v132, v132, v133 :: v_dual_sub_f32 v131, v130, v116
	v_dual_sub_f32 v129, v128, v129 :: v_dual_sub_f32 v134, v130, v131
	s_delay_alu instid0(VALU_DEP_1) | instskip(NEXT) | instid1(VALU_DEP_2)
	v_dual_sub_f32 v115, v115, v129 :: v_dual_sub_f32 v128, v128, v131
	v_sub_f32_e32 v116, v116, v134
	s_delay_alu instid0(VALU_DEP_2) | instskip(NEXT) | instid1(VALU_DEP_2)
	v_add_f32_e32 v129, v132, v115
	v_add_f32_e32 v116, v128, v116
	s_delay_alu instid0(VALU_DEP_2) | instskip(NEXT) | instid1(VALU_DEP_2)
	v_sub_f32_e32 v128, v129, v132
	v_add_f32_e32 v116, v129, v116
	s_delay_alu instid0(VALU_DEP_2) | instskip(SKIP_1) | instid1(VALU_DEP_2)
	v_sub_f32_e32 v129, v129, v128
	v_sub_f32_e32 v115, v115, v128
	v_dual_add_f32 v131, v130, v116 :: v_dual_sub_f32 v128, v132, v129
	s_delay_alu instid0(VALU_DEP_1) | instskip(NEXT) | instid1(VALU_DEP_2)
	v_sub_f32_e32 v129, v131, v130
	v_add_f32_e32 v115, v115, v128
	v_sub_nc_u32_e32 v130, 0, v114
	s_delay_alu instid0(VALU_DEP_3) | instskip(NEXT) | instid1(VALU_DEP_1)
	v_sub_f32_e32 v116, v116, v129
	v_add_f32_e32 v115, v115, v116
	s_delay_alu instid0(VALU_DEP_1) | instskip(NEXT) | instid1(VALU_DEP_1)
	v_add_f32_e32 v116, v131, v115
	v_dual_sub_f32 v128, v116, v131 :: v_dual_mul_f32 v129, v117, v116
	s_delay_alu instid0(VALU_DEP_1) | instskip(NEXT) | instid1(VALU_DEP_2)
	v_sub_f32_e32 v115, v115, v128
	v_fma_f32 v116, v117, v116, -v129
	v_max_i32_e32 v128, v114, v130
	v_cmp_class_f32_e64 vcc_hi, v129, 0x204
	v_trunc_f32_e32 v114, v117
	s_delay_alu instid0(VALU_DEP_4) | instskip(NEXT) | instid1(VALU_DEP_4)
	v_fmac_f32_e32 v116, v117, v115
	v_cvt_f32_u32_e32 v115, v128
	v_sub_nc_u32_e32 v133, 0, v128
	s_delay_alu instid0(VALU_DEP_2) | instskip(SKIP_2) | instid1(VALU_DEP_1)
	v_rcp_iflag_f32_e32 v115, v115
	s_waitcnt_depctr 0xfff
	v_mul_f32_e32 v115, 0x4f7ffffe, v115
	v_cvt_u32_f32_e32 v115, v115
	s_delay_alu instid0(VALU_DEP_1) | instskip(NEXT) | instid1(VALU_DEP_1)
	v_mul_lo_u32 v133, v133, v115
	v_mul_hi_u32 v133, v115, v133
	s_delay_alu instid0(VALU_DEP_1) | instskip(NEXT) | instid1(VALU_DEP_1)
	v_dual_add_f32 v130, v129, v116 :: v_dual_add_nc_u32 v115, v115, v133
	v_cndmask_b32_e64 v131, v130, v129, vcc_hi
	s_delay_alu instid0(VALU_DEP_2) | instskip(NEXT) | instid1(VALU_DEP_2)
	v_mul_hi_u32 v115, v146, v115
	v_cmp_eq_f32_e64 vcc_hi, 0x42b17218, v131
	v_cmp_neq_f32_e64 s30, 0x7f800000, |v131|
	v_mul_f32_e32 v133, 0.5, v117
	s_delay_alu instid0(VALU_DEP_3) | instskip(SKIP_2) | instid1(VALU_DEP_3)
	v_cndmask_b32_e64 v132, 0, 0x37000000, vcc_hi
	v_sub_f32_e32 v129, v130, v129
	v_cmp_gt_f32_e64 vcc_hi, 0, v117
	v_sub_f32_e32 v134, v131, v132
	s_delay_alu instid0(VALU_DEP_1) | instskip(NEXT) | instid1(VALU_DEP_1)
	v_mul_f32_e32 v135, 0x3fb8aa3b, v134
	v_fma_f32 v144, 0x3fb8aa3b, v134, -v135
	v_rndne_f32_e32 v145, v135
	s_delay_alu instid0(VALU_DEP_1) | instskip(SKIP_1) | instid1(VALU_DEP_2)
	v_dual_fmac_f32 v144, 0x32a5705f, v134 :: v_dual_sub_f32 v135, v135, v145
	v_cvt_i32_f32_e32 v130, v145
	v_add_f32_e32 v135, v135, v144
	v_cndmask_b32_e64 v144, v2, 1.0, vcc_lo
	v_cmp_eq_f32_e32 vcc_lo, v114, v117
	v_sub_f32_e32 v114, v116, v129
	v_mul_lo_u32 v116, v115, v128
	v_exp_f32_e32 v135, v135
	v_cmp_eq_f32_e64 s31, 0, v144
	s_delay_alu instid0(VALU_DEP_3) | instskip(SKIP_1) | instid1(VALU_DEP_3)
	v_cndmask_b32_e64 v114, 0, v114, s30
	v_cmp_ngt_f32_e64 s30, 0xc2ce8ed0, v134
	s_xor_b32 vcc_hi, vcc_hi, s31
	s_delay_alu instid0(VALU_DEP_4) | instskip(NEXT) | instid1(VALU_DEP_3)
	v_sub_nc_u32_e32 v116, v146, v116
	v_add_f32_e32 v114, v132, v114
	s_waitcnt_depctr 0xfff
	v_ldexp_f32 v117, v135, v130
	v_add_nc_u32_e32 v130, 1, v115
	v_trunc_f32_e32 v129, v133
	v_cmp_ge_u32_e64 s34, v116, v128
	s_delay_alu instid0(VALU_DEP_4) | instskip(SKIP_1) | instid1(VALU_DEP_3)
	v_cndmask_b32_e64 v117, 0, v117, s30
	v_cmp_nlt_f32_e64 s30, 0x42b17218, v134
	v_cndmask_b32_e64 v115, v115, v130, s34
	s_delay_alu instid0(VALU_DEP_2) | instskip(SKIP_2) | instid1(VALU_DEP_3)
	v_cndmask_b32_e64 v117, 0x7f800000, v117, s30
	v_cmp_neq_f32_e64 s30, v129, v133
	v_sub_nc_u32_e32 v129, v116, v128
	v_fma_f32 v114, v117, v114, v117
	v_cmp_class_f32_e64 s35, v117, 0x204
	s_delay_alu instid0(VALU_DEP_4) | instskip(NEXT) | instid1(VALU_DEP_3)
	s_and_b32 s30, vcc_lo, s30
	v_cndmask_b32_e64 v116, v116, v129, s34
	v_cndmask_b32_e64 v130, 1.0, v144, s30
	v_cndmask_b32_e64 v129, 0x7f800000, 0, vcc_hi
	v_cndmask_b32_e64 v114, v114, v117, s35
	s_delay_alu instid0(VALU_DEP_4) | instskip(NEXT) | instid1(VALU_DEP_2)
	v_cmp_ge_u32_e64 vcc_hi, v116, v128
	v_bfi_b32 v114, 0x7fffffff, v114, v130
	v_add_nc_u32_e32 v117, 1, v115
	v_cndmask_b32_e64 v130, 0, v144, s30
	s_delay_alu instid0(VALU_DEP_3) | instskip(NEXT) | instid1(VALU_DEP_3)
	v_cndmask_b32_e32 v116, 0x7fc00000, v114, vcc_lo
	v_cndmask_b32_e64 v115, v115, v117, vcc_hi
	v_cmp_eq_f32_e32 vcc_lo, 0x7f800000, v118
	v_cmp_gt_f32_e64 vcc_hi, 0, v144
	v_bfi_b32 v117, 0x7fffffff, v129, v130
	s_delay_alu instid0(VALU_DEP_4) | instskip(SKIP_1) | instid1(VALU_DEP_3)
	v_xor_b32_e32 v115, v115, v113
	s_or_b32 vcc_lo, vcc_lo, s31
	v_cndmask_b32_e64 v114, v114, v116, vcc_hi
	s_delay_alu instid0(VALU_DEP_2) | instskip(NEXT) | instid1(VALU_DEP_2)
	v_sub_nc_u32_e32 v113, v115, v113
	v_cndmask_b32_e32 v114, v114, v117, vcc_lo
	v_cmp_o_f32_e32 vcc_lo, v144, v144
	s_delay_alu instid0(VALU_DEP_3) | instskip(NEXT) | instid1(VALU_DEP_3)
	v_cvt_f32_i32_e32 v113, v113
	v_cndmask_b32_e32 v114, 0x7fc00000, v114, vcc_lo
	v_cmp_eq_u32_e32 vcc_lo, s51, v28
	s_add_i32 s51, s51, 1
	s_delay_alu instid0(VALU_DEP_2) | instskip(SKIP_2) | instid1(VALU_DEP_1)
	v_mul_f32_e32 v113, v114, v113
	s_or_b32 s50, vcc_lo, s50
	s_waitcnt vmcnt(0)
	v_fmac_f32_e32 v102, v119, v113
	s_and_not1_b32 exec_lo, exec_lo, s50
	s_cbranch_execz .LBB0_87
.LBB0_72:                               ;   Parent Loop BB0_50 Depth=1
                                        ;     Parent Loop BB0_69 Depth=2
                                        ; =>    This Loop Header: Depth=3
                                        ;         Child Loop BB0_74 Depth 4
                                        ;         Child Loop BB0_78 Depth 4
	;; [unrolled: 1-line block ×3, first 2 shown]
	v_mov_b32_e32 v113, 1
	s_and_saveexec_b32 vcc_hi, s2
	s_cbranch_execz .LBB0_76
; %bb.73:                               ;   in Loop: Header=BB0_72 Depth=3
	s_mov_b32 s31, 1
	s_mov_b32 s30, 0
	;; [unrolled: 1-line block ×3, first 2 shown]
.LBB0_74:                               ;   Parent Loop BB0_50 Depth=1
                                        ;     Parent Loop BB0_69 Depth=2
                                        ;       Parent Loop BB0_72 Depth=3
                                        ; =>      This Inner Loop Header: Depth=4
	s_add_i32 s31, s31, 1
	s_delay_alu instid0(SALU_CYCLE_1) | instskip(SKIP_1) | instid1(SALU_CYCLE_1)
	v_cmp_eq_u32_e32 vcc_lo, s31, v28
	s_mul_i32 s34, s34, s31
	v_mov_b32_e32 v113, s34
	s_or_b32 s30, vcc_lo, s30
	s_delay_alu instid0(SALU_CYCLE_1)
	s_and_not1_b32 exec_lo, exec_lo, s30
	s_cbranch_execnz .LBB0_74
; %bb.75:                               ;   in Loop: Header=BB0_72 Depth=3
	s_or_b32 exec_lo, exec_lo, s30
.LBB0_76:                               ;   in Loop: Header=BB0_72 Depth=3
	s_delay_alu instid0(SALU_CYCLE_1)
	s_or_b32 exec_lo, exec_lo, vcc_hi
	s_cmp_lt_u32 s51, 2
	s_mov_b32 s30, 1
	s_cbranch_scc1 .LBB0_79
; %bb.77:                               ;   in Loop: Header=BB0_72 Depth=3
	s_mov_b32 vcc_lo, 1
.LBB0_78:                               ;   Parent Loop BB0_50 Depth=1
                                        ;     Parent Loop BB0_69 Depth=2
                                        ;       Parent Loop BB0_72 Depth=3
                                        ; =>      This Inner Loop Header: Depth=4
	s_delay_alu instid0(SALU_CYCLE_1) | instskip(NEXT) | instid1(SALU_CYCLE_1)
	s_add_i32 vcc_lo, vcc_lo, 1
	s_cmp_lg_u32 s51, vcc_lo
	s_mul_i32 s30, s30, vcc_lo
	s_cbranch_scc1 .LBB0_78
.LBB0_79:                               ;   in Loop: Header=BB0_72 Depth=3
	v_subrev_nc_u32_e32 v115, s51, v28
	v_mov_b32_e32 v114, 1
	s_mov_b32 s31, 1
	s_mov_b32 vcc_hi, exec_lo
	s_delay_alu instid0(VALU_DEP_2)
	v_cmpx_lt_i32_e32 1, v115
	s_cbranch_execz .LBB0_71
; %bb.80:                               ;   in Loop: Header=BB0_72 Depth=3
	s_mov_b32 s34, 0
	s_mov_b32 s35, 0
.LBB0_81:                               ;   Parent Loop BB0_50 Depth=1
                                        ;     Parent Loop BB0_69 Depth=2
                                        ;       Parent Loop BB0_72 Depth=3
                                        ; =>      This Inner Loop Header: Depth=4
	s_delay_alu instid0(SALU_CYCLE_1)
	s_add_i32 s52, s35, 2
	s_add_i32 s35, s35, 1
	s_mul_i32 s31, s31, s52
	v_cmp_eq_u32_e32 vcc_lo, s35, v112
	v_mov_b32_e32 v114, s31
	s_or_b32 s34, vcc_lo, s34
	s_delay_alu instid0(SALU_CYCLE_1)
	s_and_not1_b32 exec_lo, exec_lo, s34
	s_cbranch_execnz .LBB0_81
; %bb.82:                               ;   in Loop: Header=BB0_72 Depth=3
	s_or_b32 exec_lo, exec_lo, s34
	s_branch .LBB0_71
.LBB0_83:                               ;   in Loop: Header=BB0_69 Depth=2
	s_or_b32 exec_lo, exec_lo, s49
	v_mov_b32_e32 v103, 1
	s_and_saveexec_b32 vcc_hi, s3
	s_cbranch_execz .LBB0_88
.LBB0_84:                               ;   in Loop: Header=BB0_69 Depth=2
	s_mov_b32 s31, 1
	s_mov_b32 s30, 0
	;; [unrolled: 1-line block ×3, first 2 shown]
.LBB0_85:                               ;   Parent Loop BB0_50 Depth=1
                                        ;     Parent Loop BB0_69 Depth=2
                                        ; =>    This Inner Loop Header: Depth=3
	s_add_i32 s31, s31, 1
	s_delay_alu instid0(SALU_CYCLE_1) | instskip(SKIP_1) | instid1(SALU_CYCLE_1)
	v_cmp_eq_u32_e32 vcc_lo, s31, v51
	s_mul_i32 s34, s34, s31
	v_mov_b32_e32 v103, s34
	s_or_b32 s30, vcc_lo, s30
	s_delay_alu instid0(SALU_CYCLE_1)
	s_and_not1_b32 exec_lo, exec_lo, s30
	s_cbranch_execnz .LBB0_85
; %bb.86:                               ;   in Loop: Header=BB0_69 Depth=2
	s_or_b32 exec_lo, exec_lo, s30
	s_delay_alu instid0(SALU_CYCLE_1)
	s_or_b32 exec_lo, exec_lo, vcc_hi
	s_cmp_lt_u32 s48, 2
	s_mov_b32 s30, 1
	s_cbranch_scc1 .LBB0_91
	s_branch .LBB0_89
.LBB0_87:                               ;   in Loop: Header=BB0_69 Depth=2
	s_or_b32 exec_lo, exec_lo, s50
	s_delay_alu instid0(SALU_CYCLE_1)
	s_or_b32 exec_lo, exec_lo, s49
	v_mov_b32_e32 v103, 1
	s_and_saveexec_b32 vcc_hi, s3
	s_cbranch_execnz .LBB0_84
.LBB0_88:                               ;   in Loop: Header=BB0_69 Depth=2
	s_or_b32 exec_lo, exec_lo, vcc_hi
	s_cmp_lt_u32 s48, 2
	s_mov_b32 s30, 1
	s_cbranch_scc1 .LBB0_91
.LBB0_89:                               ;   in Loop: Header=BB0_69 Depth=2
	s_mov_b32 vcc_lo, 1
.LBB0_90:                               ;   Parent Loop BB0_50 Depth=1
                                        ;     Parent Loop BB0_69 Depth=2
                                        ; =>    This Inner Loop Header: Depth=3
	s_delay_alu instid0(SALU_CYCLE_1) | instskip(NEXT) | instid1(SALU_CYCLE_1)
	s_add_i32 vcc_lo, vcc_lo, 1
	s_cmp_lg_u32 s48, vcc_lo
	s_mul_i32 s30, s30, vcc_lo
	s_cbranch_scc1 .LBB0_90
.LBB0_91:                               ;   in Loop: Header=BB0_69 Depth=2
	v_subrev_nc_u32_e32 v113, s48, v51
	v_mov_b32_e32 v112, 1
	s_mov_b32 s31, 1
	s_mov_b32 vcc_hi, exec_lo
	s_delay_alu instid0(VALU_DEP_2)
	v_cmpx_lt_i32_e32 1, v113
	s_cbranch_execz .LBB0_68
; %bb.92:                               ;   in Loop: Header=BB0_69 Depth=2
	s_mov_b32 s34, 0
	s_mov_b32 s35, 0
.LBB0_93:                               ;   Parent Loop BB0_50 Depth=1
                                        ;     Parent Loop BB0_69 Depth=2
                                        ; =>    This Inner Loop Header: Depth=3
	s_delay_alu instid0(SALU_CYCLE_1)
	s_add_i32 s49, s35, 2
	s_add_i32 s35, s35, 1
	s_mul_i32 s31, s31, s49
	v_cmp_eq_u32_e32 vcc_lo, s35, v101
	v_mov_b32_e32 v112, s31
	s_or_b32 s34, vcc_lo, s34
	s_delay_alu instid0(SALU_CYCLE_1)
	s_and_not1_b32 exec_lo, exec_lo, s34
	s_cbranch_execnz .LBB0_93
; %bb.94:                               ;   in Loop: Header=BB0_69 Depth=2
	s_or_b32 exec_lo, exec_lo, s34
	s_branch .LBB0_68
.LBB0_95:                               ;   in Loop: Header=BB0_50 Depth=1
	s_or_b32 exec_lo, exec_lo, s47
.LBB0_96:                               ;   in Loop: Header=BB0_50 Depth=1
	s_delay_alu instid0(SALU_CYCLE_1)
	s_or_b32 exec_lo, exec_lo, s46
	v_mul_f32_e32 v101, v20, v100
	v_mul_f32_e32 v103, v21, v97
	scratch_store_b32 off, v70, s32 offset:32
	v_cvt_f64_f32_e32 v[101:102], v101
	v_cvt_f64_f32_e32 v[112:113], v103
	s_delay_alu instid0(VALU_DEP_1) | instskip(NEXT) | instid1(VALU_DEP_1)
	v_fma_f64 v[101:102], v[112:113], 2.0, v[101:102]
	v_cvt_f32_f64_e32 v102, v[101:102]
	s_and_saveexec_b32 vcc_lo, s10
	s_cbranch_execz .LBB0_98
; %bb.97:                               ;   in Loop: Header=BB0_50 Depth=1
	s_delay_alu instid0(VALU_DEP_1)
	v_mul_f32_e32 v101, v70, v102
	scratch_store_b32 off, v101, s32 offset:60
.LBB0_98:                               ;   in Loop: Header=BB0_50 Depth=1
	s_or_b32 exec_lo, exec_lo, vcc_lo
	v_mul_f32_e32 v101, v19, v100
	v_mul_f32_e32 v103, v22, v97
	s_delay_alu instid0(VALU_DEP_2) | instskip(NEXT) | instid1(VALU_DEP_2)
	v_cvt_f64_f32_e32 v[112:113], v101
	v_cvt_f64_f32_e32 v[114:115], v103
	s_delay_alu instid0(VALU_DEP_1) | instskip(NEXT) | instid1(VALU_DEP_1)
	v_fma_f64 v[112:113], v[114:115], 2.0, v[112:113]
	v_cvt_f32_f64_e32 v101, v[112:113]
	s_and_saveexec_b32 vcc_lo, s11
	s_cbranch_execz .LBB0_100
; %bb.99:                               ;   in Loop: Header=BB0_50 Depth=1
	s_delay_alu instid0(VALU_DEP_1)
	v_mul_f32_e32 v103, v70, v101
	scratch_store_b32 off, v103, s32 offset:36
.LBB0_100:                              ;   in Loop: Header=BB0_50 Depth=1
	s_or_b32 exec_lo, exec_lo, vcc_lo
	s_and_saveexec_b32 vcc_hi, s12
	s_cbranch_execz .LBB0_103
; %bb.101:                              ;   in Loop: Header=BB0_50 Depth=1
	scratch_load_b32 v103, off, s32 offset:60
	s_mov_b32 s30, 1
	s_mov_b32 s31, 0
	;; [unrolled: 1-line block ×3, first 2 shown]
.LBB0_102:                              ;   Parent Loop BB0_50 Depth=1
                                        ; =>  This Inner Loop Header: Depth=2
	scratch_load_b32 v112, off, s34 offset:-56
	v_cvt_f32_i32_e32 v113, s30
	s_add_i32 s30, s30, 1
	s_delay_alu instid0(SALU_CYCLE_1) | instskip(NEXT) | instid1(VALU_DEP_2)
	v_cmp_eq_u32_e32 vcc_lo, s30, v25
	v_mul_f32_e32 v113, v99, v113
	s_waitcnt vmcnt(0)
	s_delay_alu instid0(VALU_DEP_1) | instskip(NEXT) | instid1(VALU_DEP_1)
	v_mul_f32_e32 v112, v112, v113
	v_fmac_f32_e32 v112, v103, v102
	s_delay_alu instid0(VALU_DEP_1) | instskip(SKIP_3) | instid1(SALU_CYCLE_1)
	v_mov_b32_e32 v103, v112
	scratch_store_b32 off, v112, s34
	s_add_i32 s34, s34, 28
	s_or_b32 s31, vcc_lo, s31
	s_and_not1_b32 exec_lo, exec_lo, s31
	s_cbranch_execnz .LBB0_102
.LBB0_103:                              ;   in Loop: Header=BB0_50 Depth=1
	s_or_b32 exec_lo, exec_lo, vcc_hi
	s_and_saveexec_b32 vcc_hi, s13
	s_cbranch_execz .LBB0_106
; %bb.104:                              ;   in Loop: Header=BB0_50 Depth=1
	scratch_load_b32 v102, off, s32 offset:36
	v_mov_b32_e32 v103, v70
	s_mov_b32 s30, 1
	s_mov_b32 s31, 0
	;; [unrolled: 1-line block ×3, first 2 shown]
.LBB0_105:                              ;   Parent Loop BB0_50 Depth=1
                                        ; =>  This Inner Loop Header: Depth=2
	v_cvt_f32_i32_e32 v112, s30
	s_waitcnt vmcnt(0)
	v_mov_b32_e32 v113, v102
	s_add_i32 s30, s30, 1
	s_delay_alu instid0(SALU_CYCLE_1) | instskip(SKIP_1) | instid1(VALU_DEP_1)
	v_cmp_eq_u32_e32 vcc_lo, s30, v69
	v_mul_f32_e32 v112, v98, v112
	v_dual_mul_f32 v102, v103, v112 :: v_dual_mov_b32 v103, v113
	s_delay_alu instid0(VALU_DEP_1) | instskip(SKIP_3) | instid1(SALU_CYCLE_1)
	v_fmac_f32_e32 v102, v113, v101
	scratch_store_b32 off, v102, s34
	s_add_i32 s34, s34, 4
	s_or_b32 s31, vcc_lo, s31
	s_and_not1_b32 exec_lo, exec_lo, s31
	s_cbranch_execnz .LBB0_105
.LBB0_106:                              ;   in Loop: Header=BB0_50 Depth=1
	s_or_b32 exec_lo, exec_lo, vcc_hi
	s_and_saveexec_b32 vcc_hi, s39
	s_cbranch_execz .LBB0_112
; %bb.107:                              ;   in Loop: Header=BB0_50 Depth=1
	s_mov_b32 s34, 1
	s_mov_b32 s30, 0
	s_mov_b32 s31, s43
	s_set_inst_prefetch_distance 0x1
	s_branch .LBB0_109
	.p2align	6
.LBB0_108:                              ;   in Loop: Header=BB0_109 Depth=2
	s_or_b32 exec_lo, exec_lo, s35
	v_cmp_eq_u32_e32 vcc_lo, s34, v25
	s_add_i32 s34, s34, 1
	s_add_i32 s31, s31, 28
	s_or_b32 s30, vcc_lo, s30
	s_delay_alu instid0(SALU_CYCLE_1)
	s_and_not1_b32 exec_lo, exec_lo, s30
	s_cbranch_execz .LBB0_112
.LBB0_109:                              ;   Parent Loop BB0_50 Depth=1
                                        ; =>  This Loop Header: Depth=2
                                        ;       Child Loop BB0_111 Depth 3
	s_mul_i32 vcc_lo, s34, 28
	s_add_i32 s35, s32, 32
	v_cvt_f32_u32_e32 v102, s34
	s_add_i32 vcc_lo, vcc_lo, s35
	s_clause 0x1
	scratch_load_b32 v112, off, vcc_lo
	scratch_load_b32 v113, off, vcc_lo offset:-28
	s_waitcnt vmcnt(1)
	v_dual_mul_f32 v102, v97, v102 :: v_dual_mul_f32 v103, v112, v101
	s_waitcnt vmcnt(0)
	s_delay_alu instid0(VALU_DEP_1)
	v_fmac_f32_e32 v103, v113, v102
	scratch_store_b32 off, v103, vcc_lo offset:4
	s_and_saveexec_b32 s35, s13
	s_cbranch_execz .LBB0_108
; %bb.110:                              ;   in Loop: Header=BB0_109 Depth=2
	s_mov_b32 s46, 1
	s_mov_b32 s47, 0
	;; [unrolled: 1-line block ×3, first 2 shown]
	.p2align	6
.LBB0_111:                              ;   Parent Loop BB0_50 Depth=1
                                        ;     Parent Loop BB0_109 Depth=2
                                        ; =>    This Inner Loop Header: Depth=3
	scratch_load_b32 v113, off, s48 offset:-32
	v_cvt_f32_i32_e32 v114, s46
	s_add_i32 s46, s46, 1
	v_mov_b32_e32 v115, v103
	v_cmp_eq_u32_e32 vcc_lo, s46, v69
	s_delay_alu instid0(VALU_DEP_3) | instskip(NEXT) | instid1(VALU_DEP_1)
	v_mul_f32_e32 v114, v98, v114
	v_dual_mul_f32 v103, v112, v114 :: v_dual_mov_b32 v112, v115
	s_waitcnt vmcnt(0)
	s_delay_alu instid0(VALU_DEP_1) | instskip(NEXT) | instid1(VALU_DEP_1)
	v_fmac_f32_e32 v103, v102, v113
	v_fmac_f32_e32 v103, v115, v101
	scratch_store_b32 off, v103, s48
	s_add_i32 s48, s48, 4
	s_or_b32 s47, vcc_lo, s47
	s_delay_alu instid0(SALU_CYCLE_1)
	s_and_not1_b32 exec_lo, exec_lo, s47
	s_cbranch_execnz .LBB0_111
	s_branch .LBB0_108
.LBB0_112:                              ;   in Loop: Header=BB0_50 Depth=1
	s_set_inst_prefetch_distance 0x2
	s_or_b32 exec_lo, exec_lo, vcc_hi
	v_mov_b32_e32 v101, 0
	s_and_saveexec_b32 s46, s14
	s_cbranch_execz .LBB0_142
; %bb.113:                              ;   in Loop: Header=BB0_50 Depth=1
	v_dual_mov_b32 v101, 0 :: v_dual_mov_b32 v102, v85
	s_mov_b32 s47, 0
	s_mov_b32 s48, 0
	s_branch .LBB0_115
.LBB0_114:                              ;   in Loop: Header=BB0_115 Depth=2
	s_or_b32 exec_lo, exec_lo, vcc_hi
	v_cvt_f32_i32_e32 v114, v114
	v_mul_lo_u32 v113, v113, s30
	v_sub_nc_u32_e32 v144, 0, v112
	v_add_nc_u32_e32 v102, -1, v102
	s_delay_alu instid0(VALU_DEP_4) | instskip(NEXT) | instid1(VALU_DEP_3)
	v_cndmask_b32_e64 v116, v114, 1.0, s19
	v_max_i32_e32 v144, v112, v144
	v_xor_b32_e32 v112, v112, v113
	s_delay_alu instid0(VALU_DEP_3) | instskip(NEXT) | instid1(VALU_DEP_2)
	v_cmp_eq_f32_e32 vcc_lo, 0, v116
	v_ashrrev_i32_e32 v112, 31, v112
	v_cndmask_b32_e64 v117, |v8|, 1.0, vcc_lo
	s_delay_alu instid0(VALU_DEP_1) | instskip(NEXT) | instid1(VALU_DEP_1)
	v_frexp_mant_f32_e32 v114, v117
	v_cmp_gt_f32_e64 vcc_hi, 0x3f2aaaab, v114
	s_delay_alu instid0(VALU_DEP_1) | instskip(NEXT) | instid1(VALU_DEP_1)
	v_cndmask_b32_e64 v115, 1.0, 2.0, vcc_hi
	v_mul_f32_e32 v114, v114, v115
	s_delay_alu instid0(VALU_DEP_1) | instskip(SKIP_1) | instid1(VALU_DEP_2)
	v_add_f32_e32 v115, 1.0, v114
	v_add_f32_e32 v119, -1.0, v114
	v_add_f32_e32 v129, -1.0, v115
	s_delay_alu instid0(VALU_DEP_1) | instskip(SKIP_3) | instid1(VALU_DEP_1)
	v_sub_f32_e32 v114, v114, v129
	v_rcp_f32_e32 v118, v115
	s_waitcnt_depctr 0xfff
	v_mul_f32_e32 v128, v119, v118
	v_mul_f32_e32 v130, v115, v128
	s_delay_alu instid0(VALU_DEP_1) | instskip(NEXT) | instid1(VALU_DEP_1)
	v_fma_f32 v115, v128, v115, -v130
	v_fmac_f32_e32 v115, v128, v114
	s_delay_alu instid0(VALU_DEP_1) | instskip(NEXT) | instid1(VALU_DEP_1)
	v_add_f32_e32 v114, v130, v115
	v_sub_f32_e32 v129, v119, v114
	s_delay_alu instid0(VALU_DEP_1) | instskip(NEXT) | instid1(VALU_DEP_1)
	v_dual_sub_f32 v130, v114, v130 :: v_dual_sub_f32 v119, v119, v129
	v_dual_sub_f32 v115, v130, v115 :: v_dual_sub_f32 v114, v119, v114
	s_delay_alu instid0(VALU_DEP_1) | instskip(NEXT) | instid1(VALU_DEP_1)
	v_add_f32_e32 v114, v115, v114
	v_add_f32_e32 v114, v129, v114
	s_delay_alu instid0(VALU_DEP_1) | instskip(NEXT) | instid1(VALU_DEP_1)
	v_mul_f32_e32 v114, v118, v114
	v_add_f32_e32 v118, v128, v114
	s_delay_alu instid0(VALU_DEP_1) | instskip(NEXT) | instid1(VALU_DEP_1)
	v_sub_f32_e32 v115, v118, v128
	v_sub_f32_e32 v128, v114, v115
	s_delay_alu instid0(VALU_DEP_1) | instskip(NEXT) | instid1(VALU_DEP_1)
	v_dual_mul_f32 v119, v118, v118 :: v_dual_add_f32 v114, v128, v128
	v_fma_f32 v129, v118, v118, -v119
	s_delay_alu instid0(VALU_DEP_1) | instskip(SKIP_1) | instid1(VALU_DEP_2)
	v_fmac_f32_e32 v129, v118, v114
	v_cvt_f64_f32_e32 v[114:115], v117
	v_add_f32_e32 v130, v119, v129
	s_delay_alu instid0(VALU_DEP_1) | instskip(SKIP_1) | instid1(VALU_DEP_2)
	v_fmaak_f32 v131, s44, v130, 0x3e91f4c4
	v_sub_f32_e32 v119, v130, v119
	v_fmaak_f32 v131, v130, v131, 0x3ecccdef
	s_delay_alu instid0(VALU_DEP_2) | instskip(NEXT) | instid1(VALU_DEP_2)
	v_sub_f32_e32 v119, v129, v119
	v_mul_f32_e32 v132, v130, v131
	s_delay_alu instid0(VALU_DEP_1) | instskip(NEXT) | instid1(VALU_DEP_1)
	v_fma_f32 v129, v130, v131, -v132
	v_dual_fmac_f32 v129, v119, v131 :: v_dual_mul_f32 v134, v118, v130
	s_delay_alu instid0(VALU_DEP_1) | instskip(SKIP_1) | instid1(VALU_DEP_2)
	v_add_f32_e32 v131, v132, v129
	v_frexp_exp_i32_f64_e32 v114, v[114:115]
	v_sub_f32_e32 v132, v131, v132
	s_delay_alu instid0(VALU_DEP_1) | instskip(SKIP_1) | instid1(VALU_DEP_1)
	v_sub_f32_e32 v115, v129, v132
	v_fma_f32 v132, v130, v118, -v134
	v_dual_add_f32 v133, 0x3f2aaaaa, v131 :: v_dual_fmac_f32 v132, v130, v128
	s_delay_alu instid0(VALU_DEP_1) | instskip(SKIP_1) | instid1(VALU_DEP_3)
	v_add_f32_e32 v129, 0xbf2aaaaa, v133
	v_ldexp_f32 v128, v128, 1
	v_dual_fmac_f32 v132, v119, v118 :: v_dual_add_f32 v115, 0x31739010, v115
	s_delay_alu instid0(VALU_DEP_3) | instskip(NEXT) | instid1(VALU_DEP_1)
	v_sub_f32_e32 v129, v131, v129
	v_add_f32_e32 v115, v115, v129
	s_delay_alu instid0(VALU_DEP_1) | instskip(NEXT) | instid1(VALU_DEP_1)
	v_add_f32_e32 v119, v133, v115
	v_sub_f32_e32 v130, v133, v119
	v_subrev_co_ci_u32_e64 v114, vcc_hi, 0, v114, vcc_hi
	s_delay_alu instid0(VALU_DEP_2) | instskip(NEXT) | instid1(VALU_DEP_2)
	v_add_f32_e32 v115, v115, v130
	v_cvt_f32_i32_e32 v114, v114
	v_add_f32_e32 v129, v134, v132
	s_delay_alu instid0(VALU_DEP_1) | instskip(SKIP_1) | instid1(VALU_DEP_2)
	v_mul_f32_e32 v131, v129, v119
	v_sub_f32_e32 v133, v129, v134
	v_fma_f32 v130, v129, v119, -v131
	s_delay_alu instid0(VALU_DEP_2) | instskip(NEXT) | instid1(VALU_DEP_2)
	v_sub_f32_e32 v132, v132, v133
	v_fmac_f32_e32 v130, v129, v115
	v_ldexp_f32 v115, v118, 1
	s_delay_alu instid0(VALU_DEP_2) | instskip(NEXT) | instid1(VALU_DEP_1)
	v_fmac_f32_e32 v130, v132, v119
	v_add_f32_e32 v118, v131, v130
	s_delay_alu instid0(VALU_DEP_1) | instskip(SKIP_2) | instid1(VALU_DEP_3)
	v_add_f32_e32 v119, v115, v118
	v_sub_f32_e32 v129, v118, v131
	v_mul_f32_e32 v131, 0x3f317218, v114
	v_sub_f32_e32 v115, v119, v115
	s_delay_alu instid0(VALU_DEP_3) | instskip(NEXT) | instid1(VALU_DEP_3)
	v_sub_f32_e32 v129, v130, v129
	v_fma_f32 v130, 0x3f317218, v114, -v131
	s_delay_alu instid0(VALU_DEP_2) | instskip(NEXT) | instid1(VALU_DEP_2)
	v_dual_sub_f32 v115, v118, v115 :: v_dual_add_f32 v118, v128, v129
	v_fmac_f32_e32 v130, 0xb102e308, v114
	s_delay_alu instid0(VALU_DEP_2) | instskip(NEXT) | instid1(VALU_DEP_1)
	v_add_f32_e32 v114, v118, v115
	v_add_f32_e32 v118, v119, v114
	s_delay_alu instid0(VALU_DEP_1) | instskip(NEXT) | instid1(VALU_DEP_1)
	v_sub_f32_e32 v119, v118, v119
	v_dual_sub_f32 v114, v114, v119 :: v_dual_add_f32 v115, v131, v130
	s_delay_alu instid0(VALU_DEP_1) | instskip(NEXT) | instid1(VALU_DEP_1)
	v_sub_f32_e32 v131, v115, v131
	v_sub_f32_e32 v130, v130, v131
	v_add_f32_e32 v128, v115, v118
	s_delay_alu instid0(VALU_DEP_2) | instskip(NEXT) | instid1(VALU_DEP_2)
	v_add_f32_e32 v119, v130, v114
	v_sub_f32_e32 v129, v128, v115
	s_delay_alu instid0(VALU_DEP_1) | instskip(NEXT) | instid1(VALU_DEP_1)
	v_sub_f32_e32 v132, v128, v129
	v_dual_sub_f32 v118, v118, v129 :: v_dual_sub_f32 v115, v115, v132
	s_delay_alu instid0(VALU_DEP_1) | instskip(NEXT) | instid1(VALU_DEP_1)
	v_dual_add_f32 v115, v118, v115 :: v_dual_sub_f32 v118, v119, v130
	v_add_f32_e32 v115, v119, v115
	s_delay_alu instid0(VALU_DEP_2) | instskip(NEXT) | instid1(VALU_DEP_2)
	v_sub_f32_e32 v119, v119, v118
	v_dual_sub_f32 v114, v114, v118 :: v_dual_add_f32 v129, v128, v115
	s_delay_alu instid0(VALU_DEP_1) | instskip(NEXT) | instid1(VALU_DEP_1)
	v_dual_sub_f32 v118, v130, v119 :: v_dual_sub_f32 v119, v129, v128
	v_add_f32_e32 v114, v114, v118
	v_sub_nc_u32_e32 v128, 0, v113
	s_delay_alu instid0(VALU_DEP_3) | instskip(NEXT) | instid1(VALU_DEP_1)
	v_sub_f32_e32 v115, v115, v119
	v_add_f32_e32 v114, v114, v115
	s_delay_alu instid0(VALU_DEP_1) | instskip(NEXT) | instid1(VALU_DEP_1)
	v_add_f32_e32 v115, v129, v114
	v_dual_sub_f32 v118, v115, v129 :: v_dual_mul_f32 v119, v116, v115
	s_delay_alu instid0(VALU_DEP_1) | instskip(NEXT) | instid1(VALU_DEP_2)
	v_sub_f32_e32 v114, v114, v118
	v_fma_f32 v115, v116, v115, -v119
	v_max_i32_e32 v118, v113, v128
	v_cmp_class_f32_e64 vcc_hi, v119, 0x204
	v_trunc_f32_e32 v113, v116
	s_delay_alu instid0(VALU_DEP_4) | instskip(NEXT) | instid1(VALU_DEP_4)
	v_fmac_f32_e32 v115, v116, v114
	v_cvt_f32_u32_e32 v114, v118
	v_sub_nc_u32_e32 v131, 0, v118
	s_delay_alu instid0(VALU_DEP_3) | instskip(NEXT) | instid1(VALU_DEP_3)
	v_add_f32_e32 v128, v119, v115
	v_rcp_iflag_f32_e32 v114, v114
	s_delay_alu instid0(VALU_DEP_1) | instskip(NEXT) | instid1(VALU_DEP_1)
	v_cndmask_b32_e64 v129, v128, v119, vcc_hi
	v_cmp_eq_f32_e64 vcc_hi, 0x42b17218, v129
	s_waitcnt_depctr 0xfff
	v_mul_f32_e32 v114, 0x4f7ffffe, v114
	v_cmp_neq_f32_e64 s30, 0x7f800000, |v129|
	v_cndmask_b32_e64 v130, 0, 0x37000000, vcc_hi
	s_delay_alu instid0(VALU_DEP_3) | instskip(SKIP_1) | instid1(VALU_DEP_3)
	v_cvt_u32_f32_e32 v114, v114
	v_cmp_gt_f32_e64 vcc_hi, 0, v116
	v_sub_f32_e32 v132, v129, v130
	s_delay_alu instid0(VALU_DEP_3) | instskip(NEXT) | instid1(VALU_DEP_2)
	v_mul_lo_u32 v131, v131, v114
	v_mul_f32_e32 v133, 0x3fb8aa3b, v132
	v_sub_f32_e32 v119, v128, v119
	s_delay_alu instid0(VALU_DEP_3) | instskip(NEXT) | instid1(VALU_DEP_3)
	v_mul_hi_u32 v131, v114, v131
	v_fma_f32 v134, 0x3fb8aa3b, v132, -v133
	v_rndne_f32_e32 v135, v133
	s_delay_alu instid0(VALU_DEP_1) | instskip(NEXT) | instid1(VALU_DEP_4)
	v_dual_fmac_f32 v134, 0x32a5705f, v132 :: v_dual_sub_f32 v133, v133, v135
	v_add_nc_u32_e32 v114, v114, v131
	v_cvt_i32_f32_e32 v128, v135
	v_mul_f32_e32 v131, 0.5, v116
	s_delay_alu instid0(VALU_DEP_4) | instskip(NEXT) | instid1(VALU_DEP_4)
	v_add_f32_e32 v133, v133, v134
	v_mul_hi_u32 v114, v144, v114
	v_cndmask_b32_e64 v134, v8, 1.0, vcc_lo
	v_cmp_eq_f32_e32 vcc_lo, v113, v116
	v_sub_f32_e32 v113, v115, v119
	v_exp_f32_e32 v133, v133
	v_trunc_f32_e32 v119, v131
	v_cmp_eq_f32_e64 s31, 0, v134
	s_delay_alu instid0(VALU_DEP_3) | instskip(SKIP_2) | instid1(VALU_DEP_4)
	v_cndmask_b32_e64 v113, 0, v113, s30
	v_cmp_ngt_f32_e64 s30, 0xc2ce8ed0, v132
	v_mul_lo_u32 v115, v114, v118
	s_xor_b32 vcc_hi, vcc_hi, s31
	s_delay_alu instid0(VALU_DEP_3) | instskip(NEXT) | instid1(TRANS32_DEP_1)
	v_add_f32_e32 v113, v130, v113
	v_ldexp_f32 v116, v133, v128
	v_add_nc_u32_e32 v128, 1, v114
	s_delay_alu instid0(VALU_DEP_4) | instskip(NEXT) | instid1(VALU_DEP_3)
	v_sub_nc_u32_e32 v115, v144, v115
	v_cndmask_b32_e64 v116, 0, v116, s30
	v_cmp_nlt_f32_e64 s30, 0x42b17218, v132
	s_delay_alu instid0(VALU_DEP_3) | instskip(NEXT) | instid1(VALU_DEP_2)
	v_cmp_ge_u32_e64 s34, v115, v118
	v_cndmask_b32_e64 v116, 0x7f800000, v116, s30
	v_cmp_neq_f32_e64 s30, v119, v131
	v_sub_nc_u32_e32 v119, v115, v118
	s_delay_alu instid0(VALU_DEP_4) | instskip(NEXT) | instid1(VALU_DEP_4)
	v_cndmask_b32_e64 v114, v114, v128, s34
	v_fma_f32 v113, v116, v113, v116
	v_cmp_class_f32_e64 s35, v116, 0x204
	s_and_b32 s30, vcc_lo, s30
	v_cndmask_b32_e64 v115, v115, v119, s34
	v_cndmask_b32_e64 v128, 1.0, v134, s30
	v_cndmask_b32_e64 v119, 0x7f800000, 0, vcc_hi
	v_cndmask_b32_e64 v113, v113, v116, s35
	v_add_nc_u32_e32 v116, 1, v114
	v_cmp_ge_u32_e64 vcc_hi, v115, v118
	s_delay_alu instid0(VALU_DEP_3) | instskip(SKIP_1) | instid1(VALU_DEP_3)
	v_bfi_b32 v113, 0x7fffffff, v113, v128
	v_cndmask_b32_e64 v128, 0, v134, s30
	v_cndmask_b32_e64 v114, v114, v116, vcc_hi
	s_delay_alu instid0(VALU_DEP_3)
	v_cndmask_b32_e32 v115, 0x7fc00000, v113, vcc_lo
	v_cmp_eq_f32_e32 vcc_lo, 0x7f800000, v117
	v_cmp_gt_f32_e64 vcc_hi, 0, v134
	v_bfi_b32 v116, 0x7fffffff, v119, v128
	v_xor_b32_e32 v114, v114, v112
	s_or_b32 vcc_lo, vcc_lo, s31
	s_delay_alu instid0(VALU_DEP_3) | instskip(NEXT) | instid1(VALU_DEP_2)
	v_cndmask_b32_e64 v113, v113, v115, vcc_hi
	v_sub_nc_u32_e32 v112, v114, v112
	s_delay_alu instid0(VALU_DEP_2) | instskip(SKIP_1) | instid1(VALU_DEP_3)
	v_cndmask_b32_e32 v113, v113, v116, vcc_lo
	v_cmp_o_f32_e32 vcc_lo, v134, v134
	v_cvt_f32_i32_e32 v112, v112
	s_delay_alu instid0(VALU_DEP_3) | instskip(SKIP_2) | instid1(VALU_DEP_2)
	v_cndmask_b32_e32 v113, 0x7fc00000, v113, vcc_lo
	v_cmp_eq_u32_e32 vcc_lo, s48, v52
	s_add_i32 s48, s48, 1
	v_mul_f32_e32 v112, v113, v112
	s_or_b32 s47, vcc_lo, s47
	s_delay_alu instid0(VALU_DEP_1)
	v_fmac_f32_e32 v101, v103, v112
	s_and_not1_b32 exec_lo, exec_lo, s47
	s_cbranch_execz .LBB0_141
.LBB0_115:                              ;   Parent Loop BB0_50 Depth=1
                                        ; =>  This Loop Header: Depth=2
                                        ;       Child Loop BB0_118 Depth 3
                                        ;         Child Loop BB0_120 Depth 4
                                        ;         Child Loop BB0_124 Depth 4
	;; [unrolled: 1-line block ×3, first 2 shown]
                                        ;       Child Loop BB0_131 Depth 3
                                        ;       Child Loop BB0_136 Depth 3
	;; [unrolled: 1-line block ×3, first 2 shown]
	v_mov_b32_e32 v103, 0
	s_and_saveexec_b32 s49, s15
	s_cbranch_execz .LBB0_129
; %bb.116:                              ;   in Loop: Header=BB0_115 Depth=2
	v_dual_mov_b32 v103, 0 :: v_dual_add_nc_u32 v112, s48, v36
	s_mov_b32 s50, 0
	s_mov_b32 s51, 0
	s_delay_alu instid0(VALU_DEP_1)
	v_dual_mov_b32 v113, v84 :: v_dual_lshlrev_b32 v112, 2, v112
	s_branch .LBB0_118
.LBB0_117:                              ;   in Loop: Header=BB0_118 Depth=3
	s_or_b32 exec_lo, exec_lo, vcc_hi
	v_cvt_f32_i32_e32 v116, v116
	s_add_i32 s31, s32, 32
	v_mul_lo_u32 v115, v115, s30
	v_sub_nc_u32_e32 v147, 0, v114
	v_add_nc_u32_e32 v133, s51, v49
	v_cndmask_b32_e64 v118, v116, 1.0, s17
	v_add_nc_u32_e32 v113, -1, v113
	s_delay_alu instid0(VALU_DEP_4) | instskip(NEXT) | instid1(VALU_DEP_3)
	v_max_i32_e32 v147, v114, v147
	v_cmp_eq_f32_e32 vcc_lo, 0, v118
	v_xor_b32_e32 v114, v114, v115
	v_cndmask_b32_e64 v119, |v9|, 1.0, vcc_lo
	s_delay_alu instid0(VALU_DEP_2) | instskip(NEXT) | instid1(VALU_DEP_2)
	v_ashrrev_i32_e32 v114, 31, v114
	v_frexp_mant_f32_e32 v116, v119
	s_delay_alu instid0(VALU_DEP_1) | instskip(NEXT) | instid1(VALU_DEP_1)
	v_cmp_gt_f32_e64 vcc_hi, 0x3f2aaaab, v116
	v_cndmask_b32_e64 v117, 1.0, 2.0, vcc_hi
	s_delay_alu instid0(VALU_DEP_1) | instskip(NEXT) | instid1(VALU_DEP_1)
	v_mul_f32_e32 v116, v116, v117
	v_add_f32_e32 v117, 1.0, v116
	v_add_f32_e32 v129, -1.0, v116
	s_delay_alu instid0(VALU_DEP_2) | instskip(NEXT) | instid1(VALU_DEP_1)
	v_add_f32_e32 v131, -1.0, v117
	v_sub_f32_e32 v116, v116, v131
	v_rcp_f32_e32 v128, v117
	s_waitcnt_depctr 0xfff
	v_mul_f32_e32 v130, v129, v128
	s_delay_alu instid0(VALU_DEP_1) | instskip(NEXT) | instid1(VALU_DEP_1)
	v_mul_f32_e32 v132, v117, v130
	v_fma_f32 v117, v130, v117, -v132
	s_delay_alu instid0(VALU_DEP_1) | instskip(NEXT) | instid1(VALU_DEP_1)
	v_fmac_f32_e32 v117, v130, v116
	v_add_f32_e32 v116, v132, v117
	s_delay_alu instid0(VALU_DEP_1) | instskip(NEXT) | instid1(VALU_DEP_1)
	v_sub_f32_e32 v131, v129, v116
	v_dual_sub_f32 v132, v116, v132 :: v_dual_sub_f32 v129, v129, v131
	s_delay_alu instid0(VALU_DEP_1) | instskip(SKIP_1) | instid1(VALU_DEP_2)
	v_dual_sub_f32 v117, v132, v117 :: v_dual_sub_f32 v116, v129, v116
	v_mul_lo_u32 v129, v133, 28
	v_add_f32_e32 v116, v117, v116
	s_delay_alu instid0(VALU_DEP_2) | instskip(NEXT) | instid1(VALU_DEP_2)
	v_add3_u32 v117, s31, v129, v112
	v_add_f32_e32 v116, v131, v116
	s_delay_alu instid0(VALU_DEP_1) | instskip(SKIP_2) | instid1(VALU_DEP_1)
	v_mul_f32_e32 v116, v128, v116
	scratch_load_b32 v128, v117, off
	v_add_f32_e32 v129, v130, v116
	v_sub_f32_e32 v117, v129, v130
	s_delay_alu instid0(VALU_DEP_1) | instskip(NEXT) | instid1(VALU_DEP_1)
	v_sub_f32_e32 v131, v116, v117
	v_add_f32_e32 v116, v131, v131
	v_mul_f32_e32 v130, v129, v129
	s_delay_alu instid0(VALU_DEP_1) | instskip(NEXT) | instid1(VALU_DEP_1)
	v_fma_f32 v132, v129, v129, -v130
	v_fmac_f32_e32 v132, v129, v116
	v_cvt_f64_f32_e32 v[116:117], v119
	s_delay_alu instid0(VALU_DEP_2) | instskip(NEXT) | instid1(VALU_DEP_1)
	v_add_f32_e32 v133, v130, v132
	v_sub_f32_e32 v130, v133, v130
	s_delay_alu instid0(VALU_DEP_1) | instskip(SKIP_2) | instid1(VALU_DEP_2)
	v_sub_f32_e32 v130, v132, v130
	v_fmaak_f32 v134, s44, v133, 0x3e91f4c4
	v_mul_f32_e32 v145, v129, v133
	v_fmaak_f32 v134, v133, v134, 0x3ecccdef
	s_delay_alu instid0(VALU_DEP_1) | instskip(NEXT) | instid1(VALU_DEP_1)
	v_mul_f32_e32 v135, v133, v134
	v_fma_f32 v132, v133, v134, -v135
	s_delay_alu instid0(VALU_DEP_1) | instskip(SKIP_1) | instid1(VALU_DEP_2)
	v_fmac_f32_e32 v132, v130, v134
	v_frexp_exp_i32_f64_e32 v116, v[116:117]
	v_add_f32_e32 v134, v135, v132
	s_delay_alu instid0(VALU_DEP_1) | instskip(NEXT) | instid1(VALU_DEP_1)
	v_sub_f32_e32 v135, v134, v135
	v_sub_f32_e32 v117, v132, v135
	v_fma_f32 v135, v133, v129, -v145
	s_delay_alu instid0(VALU_DEP_2) | instskip(NEXT) | instid1(VALU_DEP_2)
	v_add_f32_e32 v117, 0x31739010, v117
	v_fmac_f32_e32 v135, v133, v131
	v_ldexp_f32 v131, v131, 1
	s_delay_alu instid0(VALU_DEP_2) | instskip(NEXT) | instid1(VALU_DEP_1)
	v_dual_fmac_f32 v135, v130, v129 :: v_dual_add_f32 v144, 0x3f2aaaaa, v134
	v_add_f32_e32 v132, 0xbf2aaaaa, v144
	s_delay_alu instid0(VALU_DEP_1) | instskip(SKIP_1) | instid1(VALU_DEP_2)
	v_sub_f32_e32 v132, v134, v132
	v_subrev_co_ci_u32_e64 v116, vcc_hi, 0, v116, vcc_hi
	v_add_f32_e32 v117, v117, v132
	s_delay_alu instid0(VALU_DEP_2) | instskip(NEXT) | instid1(VALU_DEP_2)
	v_cvt_f32_i32_e32 v116, v116
	v_add_f32_e32 v130, v144, v117
	s_delay_alu instid0(VALU_DEP_1) | instskip(NEXT) | instid1(VALU_DEP_1)
	v_dual_add_f32 v132, v145, v135 :: v_dual_sub_f32 v133, v144, v130
	v_sub_f32_e32 v144, v132, v145
	s_delay_alu instid0(VALU_DEP_2) | instskip(NEXT) | instid1(VALU_DEP_2)
	v_add_f32_e32 v117, v117, v133
	v_dual_sub_f32 v135, v135, v144 :: v_dual_mul_f32 v134, v132, v130
	s_delay_alu instid0(VALU_DEP_1) | instskip(NEXT) | instid1(VALU_DEP_1)
	v_fma_f32 v133, v132, v130, -v134
	v_fmac_f32_e32 v133, v132, v117
	v_ldexp_f32 v117, v129, 1
	s_delay_alu instid0(VALU_DEP_2) | instskip(NEXT) | instid1(VALU_DEP_1)
	v_fmac_f32_e32 v133, v135, v130
	v_add_f32_e32 v129, v134, v133
	s_delay_alu instid0(VALU_DEP_1) | instskip(NEXT) | instid1(VALU_DEP_1)
	v_add_f32_e32 v130, v117, v129
	v_dual_sub_f32 v117, v130, v117 :: v_dual_sub_f32 v132, v129, v134
	s_delay_alu instid0(VALU_DEP_1) | instskip(NEXT) | instid1(VALU_DEP_2)
	v_dual_mul_f32 v134, 0x3f317218, v116 :: v_dual_sub_f32 v117, v129, v117
	v_sub_f32_e32 v132, v133, v132
	s_delay_alu instid0(VALU_DEP_2) | instskip(NEXT) | instid1(VALU_DEP_2)
	v_fma_f32 v133, 0x3f317218, v116, -v134
	v_add_f32_e32 v129, v131, v132
	s_delay_alu instid0(VALU_DEP_1) | instskip(NEXT) | instid1(VALU_DEP_1)
	v_dual_fmac_f32 v133, 0xb102e308, v116 :: v_dual_add_f32 v116, v129, v117
	v_add_f32_e32 v117, v134, v133
	s_delay_alu instid0(VALU_DEP_1) | instskip(NEXT) | instid1(VALU_DEP_1)
	v_dual_add_f32 v129, v130, v116 :: v_dual_sub_f32 v134, v117, v134
	v_add_f32_e32 v131, v117, v129
	s_delay_alu instid0(VALU_DEP_1) | instskip(NEXT) | instid1(VALU_DEP_1)
	v_dual_sub_f32 v133, v133, v134 :: v_dual_sub_f32 v132, v131, v117
	v_dual_sub_f32 v130, v129, v130 :: v_dual_sub_f32 v135, v131, v132
	s_delay_alu instid0(VALU_DEP_1) | instskip(NEXT) | instid1(VALU_DEP_2)
	v_dual_sub_f32 v116, v116, v130 :: v_dual_sub_f32 v129, v129, v132
	v_sub_f32_e32 v117, v117, v135
	s_delay_alu instid0(VALU_DEP_2) | instskip(NEXT) | instid1(VALU_DEP_2)
	v_add_f32_e32 v130, v133, v116
	v_add_f32_e32 v117, v129, v117
	s_delay_alu instid0(VALU_DEP_2) | instskip(NEXT) | instid1(VALU_DEP_2)
	v_sub_f32_e32 v129, v130, v133
	v_add_f32_e32 v117, v130, v117
	s_delay_alu instid0(VALU_DEP_2) | instskip(SKIP_1) | instid1(VALU_DEP_2)
	v_sub_f32_e32 v130, v130, v129
	v_sub_f32_e32 v116, v116, v129
	v_dual_add_f32 v132, v131, v117 :: v_dual_sub_f32 v129, v133, v130
	s_delay_alu instid0(VALU_DEP_1) | instskip(NEXT) | instid1(VALU_DEP_2)
	v_sub_f32_e32 v130, v132, v131
	v_add_f32_e32 v116, v116, v129
	v_sub_nc_u32_e32 v131, 0, v115
	s_delay_alu instid0(VALU_DEP_3) | instskip(NEXT) | instid1(VALU_DEP_1)
	v_sub_f32_e32 v117, v117, v130
	v_add_f32_e32 v116, v116, v117
	s_delay_alu instid0(VALU_DEP_1) | instskip(NEXT) | instid1(VALU_DEP_1)
	v_add_f32_e32 v117, v132, v116
	v_dual_sub_f32 v129, v117, v132 :: v_dual_mul_f32 v130, v118, v117
	s_delay_alu instid0(VALU_DEP_1) | instskip(NEXT) | instid1(VALU_DEP_2)
	v_sub_f32_e32 v116, v116, v129
	v_fma_f32 v117, v118, v117, -v130
	v_max_i32_e32 v129, v115, v131
	v_cmp_class_f32_e64 vcc_hi, v130, 0x204
	v_trunc_f32_e32 v115, v118
	s_delay_alu instid0(VALU_DEP_4) | instskip(NEXT) | instid1(VALU_DEP_4)
	v_fmac_f32_e32 v117, v118, v116
	v_cvt_f32_u32_e32 v116, v129
	v_sub_nc_u32_e32 v134, 0, v129
	s_delay_alu instid0(VALU_DEP_2) | instskip(SKIP_2) | instid1(VALU_DEP_1)
	v_rcp_iflag_f32_e32 v116, v116
	s_waitcnt_depctr 0xfff
	v_mul_f32_e32 v116, 0x4f7ffffe, v116
	v_cvt_u32_f32_e32 v116, v116
	s_delay_alu instid0(VALU_DEP_1) | instskip(NEXT) | instid1(VALU_DEP_1)
	v_mul_lo_u32 v134, v134, v116
	v_mul_hi_u32 v134, v116, v134
	s_delay_alu instid0(VALU_DEP_1) | instskip(NEXT) | instid1(VALU_DEP_1)
	v_dual_add_f32 v131, v130, v117 :: v_dual_add_nc_u32 v116, v116, v134
	v_cndmask_b32_e64 v132, v131, v130, vcc_hi
	s_delay_alu instid0(VALU_DEP_2) | instskip(NEXT) | instid1(VALU_DEP_2)
	v_mul_hi_u32 v116, v147, v116
	v_cmp_eq_f32_e64 vcc_hi, 0x42b17218, v132
	v_cmp_neq_f32_e64 s30, 0x7f800000, |v132|
	v_mul_f32_e32 v134, 0.5, v118
	s_delay_alu instid0(VALU_DEP_3) | instskip(SKIP_2) | instid1(VALU_DEP_3)
	v_cndmask_b32_e64 v133, 0, 0x37000000, vcc_hi
	v_sub_f32_e32 v130, v131, v130
	v_cmp_gt_f32_e64 vcc_hi, 0, v118
	v_sub_f32_e32 v135, v132, v133
	s_delay_alu instid0(VALU_DEP_1) | instskip(NEXT) | instid1(VALU_DEP_1)
	v_mul_f32_e32 v144, 0x3fb8aa3b, v135
	v_fma_f32 v145, 0x3fb8aa3b, v135, -v144
	v_rndne_f32_e32 v146, v144
	s_delay_alu instid0(VALU_DEP_1) | instskip(SKIP_1) | instid1(VALU_DEP_2)
	v_dual_fmac_f32 v145, 0x32a5705f, v135 :: v_dual_sub_f32 v144, v144, v146
	v_cvt_i32_f32_e32 v131, v146
	v_add_f32_e32 v144, v144, v145
	v_cndmask_b32_e64 v145, v9, 1.0, vcc_lo
	v_cmp_eq_f32_e32 vcc_lo, v115, v118
	v_sub_f32_e32 v115, v117, v130
	v_mul_lo_u32 v117, v116, v129
	v_exp_f32_e32 v144, v144
	v_cmp_eq_f32_e64 s31, 0, v145
	s_delay_alu instid0(VALU_DEP_3) | instskip(SKIP_1) | instid1(VALU_DEP_3)
	v_cndmask_b32_e64 v115, 0, v115, s30
	v_cmp_ngt_f32_e64 s30, 0xc2ce8ed0, v135
	s_xor_b32 vcc_hi, vcc_hi, s31
	s_delay_alu instid0(VALU_DEP_4) | instskip(NEXT) | instid1(VALU_DEP_3)
	v_sub_nc_u32_e32 v117, v147, v117
	v_add_f32_e32 v115, v133, v115
	s_waitcnt_depctr 0xfff
	v_ldexp_f32 v118, v144, v131
	v_add_nc_u32_e32 v131, 1, v116
	v_trunc_f32_e32 v130, v134
	v_cmp_ge_u32_e64 s34, v117, v129
	s_delay_alu instid0(VALU_DEP_4) | instskip(SKIP_1) | instid1(VALU_DEP_3)
	v_cndmask_b32_e64 v118, 0, v118, s30
	v_cmp_nlt_f32_e64 s30, 0x42b17218, v135
	v_cndmask_b32_e64 v116, v116, v131, s34
	s_delay_alu instid0(VALU_DEP_2) | instskip(SKIP_2) | instid1(VALU_DEP_3)
	v_cndmask_b32_e64 v118, 0x7f800000, v118, s30
	v_cmp_neq_f32_e64 s30, v130, v134
	v_sub_nc_u32_e32 v130, v117, v129
	v_fma_f32 v115, v118, v115, v118
	v_cmp_class_f32_e64 s35, v118, 0x204
	s_delay_alu instid0(VALU_DEP_4) | instskip(NEXT) | instid1(VALU_DEP_3)
	s_and_b32 s30, vcc_lo, s30
	v_cndmask_b32_e64 v117, v117, v130, s34
	v_cndmask_b32_e64 v131, 1.0, v145, s30
	v_cndmask_b32_e64 v130, 0x7f800000, 0, vcc_hi
	v_cndmask_b32_e64 v115, v115, v118, s35
	s_delay_alu instid0(VALU_DEP_4) | instskip(NEXT) | instid1(VALU_DEP_2)
	v_cmp_ge_u32_e64 vcc_hi, v117, v129
	v_bfi_b32 v115, 0x7fffffff, v115, v131
	v_add_nc_u32_e32 v118, 1, v116
	v_cndmask_b32_e64 v131, 0, v145, s30
	s_delay_alu instid0(VALU_DEP_3) | instskip(NEXT) | instid1(VALU_DEP_3)
	v_cndmask_b32_e32 v117, 0x7fc00000, v115, vcc_lo
	v_cndmask_b32_e64 v116, v116, v118, vcc_hi
	v_cmp_eq_f32_e32 vcc_lo, 0x7f800000, v119
	v_cmp_gt_f32_e64 vcc_hi, 0, v145
	v_bfi_b32 v118, 0x7fffffff, v130, v131
	s_delay_alu instid0(VALU_DEP_4) | instskip(SKIP_1) | instid1(VALU_DEP_3)
	v_xor_b32_e32 v116, v116, v114
	s_or_b32 vcc_lo, vcc_lo, s31
	v_cndmask_b32_e64 v115, v115, v117, vcc_hi
	s_delay_alu instid0(VALU_DEP_2) | instskip(NEXT) | instid1(VALU_DEP_2)
	v_sub_nc_u32_e32 v114, v116, v114
	v_cndmask_b32_e32 v115, v115, v118, vcc_lo
	v_cmp_o_f32_e32 vcc_lo, v145, v145
	s_delay_alu instid0(VALU_DEP_3) | instskip(NEXT) | instid1(VALU_DEP_3)
	v_cvt_f32_i32_e32 v114, v114
	v_cndmask_b32_e32 v115, 0x7fc00000, v115, vcc_lo
	v_cmp_eq_u32_e32 vcc_lo, s51, v29
	s_add_i32 s51, s51, 1
	s_delay_alu instid0(VALU_DEP_2) | instskip(SKIP_2) | instid1(VALU_DEP_1)
	v_mul_f32_e32 v114, v115, v114
	s_or_b32 s50, vcc_lo, s50
	s_waitcnt vmcnt(0)
	v_fmac_f32_e32 v103, v128, v114
	s_and_not1_b32 exec_lo, exec_lo, s50
	s_cbranch_execz .LBB0_133
.LBB0_118:                              ;   Parent Loop BB0_50 Depth=1
                                        ;     Parent Loop BB0_115 Depth=2
                                        ; =>    This Loop Header: Depth=3
                                        ;         Child Loop BB0_120 Depth 4
                                        ;         Child Loop BB0_124 Depth 4
	;; [unrolled: 1-line block ×3, first 2 shown]
	v_mov_b32_e32 v114, 1
	s_and_saveexec_b32 vcc_hi, s16
	s_cbranch_execz .LBB0_122
; %bb.119:                              ;   in Loop: Header=BB0_118 Depth=3
	s_mov_b32 s31, 1
	s_mov_b32 s30, 0
	;; [unrolled: 1-line block ×3, first 2 shown]
.LBB0_120:                              ;   Parent Loop BB0_50 Depth=1
                                        ;     Parent Loop BB0_115 Depth=2
                                        ;       Parent Loop BB0_118 Depth=3
                                        ; =>      This Inner Loop Header: Depth=4
	s_add_i32 s31, s31, 1
	s_delay_alu instid0(SALU_CYCLE_1) | instskip(SKIP_1) | instid1(SALU_CYCLE_1)
	v_cmp_eq_u32_e32 vcc_lo, s31, v29
	s_mul_i32 s34, s34, s31
	v_mov_b32_e32 v114, s34
	s_or_b32 s30, vcc_lo, s30
	s_delay_alu instid0(SALU_CYCLE_1)
	s_and_not1_b32 exec_lo, exec_lo, s30
	s_cbranch_execnz .LBB0_120
; %bb.121:                              ;   in Loop: Header=BB0_118 Depth=3
	s_or_b32 exec_lo, exec_lo, s30
.LBB0_122:                              ;   in Loop: Header=BB0_118 Depth=3
	s_delay_alu instid0(SALU_CYCLE_1)
	s_or_b32 exec_lo, exec_lo, vcc_hi
	s_cmp_lt_u32 s51, 2
	s_mov_b32 s30, 1
	s_cbranch_scc1 .LBB0_125
; %bb.123:                              ;   in Loop: Header=BB0_118 Depth=3
	s_mov_b32 vcc_lo, 1
.LBB0_124:                              ;   Parent Loop BB0_50 Depth=1
                                        ;     Parent Loop BB0_115 Depth=2
                                        ;       Parent Loop BB0_118 Depth=3
                                        ; =>      This Inner Loop Header: Depth=4
	s_delay_alu instid0(SALU_CYCLE_1) | instskip(NEXT) | instid1(SALU_CYCLE_1)
	s_add_i32 vcc_lo, vcc_lo, 1
	s_cmp_lg_u32 s51, vcc_lo
	s_mul_i32 s30, s30, vcc_lo
	s_cbranch_scc1 .LBB0_124
.LBB0_125:                              ;   in Loop: Header=BB0_118 Depth=3
	v_subrev_nc_u32_e32 v116, s51, v29
	v_mov_b32_e32 v115, 1
	s_mov_b32 s31, 1
	s_mov_b32 vcc_hi, exec_lo
	s_delay_alu instid0(VALU_DEP_2)
	v_cmpx_lt_i32_e32 1, v116
	s_cbranch_execz .LBB0_117
; %bb.126:                              ;   in Loop: Header=BB0_118 Depth=3
	s_mov_b32 s34, 0
	s_mov_b32 s35, 0
.LBB0_127:                              ;   Parent Loop BB0_50 Depth=1
                                        ;     Parent Loop BB0_115 Depth=2
                                        ;       Parent Loop BB0_118 Depth=3
                                        ; =>      This Inner Loop Header: Depth=4
	s_delay_alu instid0(SALU_CYCLE_1)
	s_add_i32 s52, s35, 2
	s_add_i32 s35, s35, 1
	s_mul_i32 s31, s31, s52
	v_cmp_eq_u32_e32 vcc_lo, s35, v113
	v_mov_b32_e32 v115, s31
	s_or_b32 s34, vcc_lo, s34
	s_delay_alu instid0(SALU_CYCLE_1)
	s_and_not1_b32 exec_lo, exec_lo, s34
	s_cbranch_execnz .LBB0_127
; %bb.128:                              ;   in Loop: Header=BB0_118 Depth=3
	s_or_b32 exec_lo, exec_lo, s34
	s_branch .LBB0_117
.LBB0_129:                              ;   in Loop: Header=BB0_115 Depth=2
	s_or_b32 exec_lo, exec_lo, s49
	v_mov_b32_e32 v112, 1
	s_and_saveexec_b32 vcc_hi, s18
	s_cbranch_execz .LBB0_134
.LBB0_130:                              ;   in Loop: Header=BB0_115 Depth=2
	s_mov_b32 s31, 1
	s_mov_b32 s30, 0
	;; [unrolled: 1-line block ×3, first 2 shown]
.LBB0_131:                              ;   Parent Loop BB0_50 Depth=1
                                        ;     Parent Loop BB0_115 Depth=2
                                        ; =>    This Inner Loop Header: Depth=3
	s_add_i32 s31, s31, 1
	s_delay_alu instid0(SALU_CYCLE_1) | instskip(SKIP_1) | instid1(SALU_CYCLE_1)
	v_cmp_eq_u32_e32 vcc_lo, s31, v52
	s_mul_i32 s34, s34, s31
	v_mov_b32_e32 v112, s34
	s_or_b32 s30, vcc_lo, s30
	s_delay_alu instid0(SALU_CYCLE_1)
	s_and_not1_b32 exec_lo, exec_lo, s30
	s_cbranch_execnz .LBB0_131
; %bb.132:                              ;   in Loop: Header=BB0_115 Depth=2
	s_or_b32 exec_lo, exec_lo, s30
	s_delay_alu instid0(SALU_CYCLE_1)
	s_or_b32 exec_lo, exec_lo, vcc_hi
	s_cmp_lt_u32 s48, 2
	s_mov_b32 s30, 1
	s_cbranch_scc1 .LBB0_137
	s_branch .LBB0_135
.LBB0_133:                              ;   in Loop: Header=BB0_115 Depth=2
	s_or_b32 exec_lo, exec_lo, s50
	s_delay_alu instid0(SALU_CYCLE_1)
	s_or_b32 exec_lo, exec_lo, s49
	v_mov_b32_e32 v112, 1
	s_and_saveexec_b32 vcc_hi, s18
	s_cbranch_execnz .LBB0_130
.LBB0_134:                              ;   in Loop: Header=BB0_115 Depth=2
	s_or_b32 exec_lo, exec_lo, vcc_hi
	s_cmp_lt_u32 s48, 2
	s_mov_b32 s30, 1
	s_cbranch_scc1 .LBB0_137
.LBB0_135:                              ;   in Loop: Header=BB0_115 Depth=2
	s_mov_b32 vcc_lo, 1
.LBB0_136:                              ;   Parent Loop BB0_50 Depth=1
                                        ;     Parent Loop BB0_115 Depth=2
                                        ; =>    This Inner Loop Header: Depth=3
	s_delay_alu instid0(SALU_CYCLE_1) | instskip(NEXT) | instid1(SALU_CYCLE_1)
	s_add_i32 vcc_lo, vcc_lo, 1
	s_cmp_lg_u32 s48, vcc_lo
	s_mul_i32 s30, s30, vcc_lo
	s_cbranch_scc1 .LBB0_136
.LBB0_137:                              ;   in Loop: Header=BB0_115 Depth=2
	v_subrev_nc_u32_e32 v114, s48, v52
	v_mov_b32_e32 v113, 1
	s_mov_b32 s31, 1
	s_mov_b32 vcc_hi, exec_lo
	s_delay_alu instid0(VALU_DEP_2)
	v_cmpx_lt_i32_e32 1, v114
	s_cbranch_execz .LBB0_114
; %bb.138:                              ;   in Loop: Header=BB0_115 Depth=2
	s_mov_b32 s34, 0
	s_mov_b32 s35, 0
.LBB0_139:                              ;   Parent Loop BB0_50 Depth=1
                                        ;     Parent Loop BB0_115 Depth=2
                                        ; =>    This Inner Loop Header: Depth=3
	s_delay_alu instid0(SALU_CYCLE_1)
	s_add_i32 s49, s35, 2
	s_add_i32 s35, s35, 1
	s_mul_i32 s31, s31, s49
	v_cmp_eq_u32_e32 vcc_lo, s35, v102
	v_mov_b32_e32 v113, s31
	s_or_b32 s34, vcc_lo, s34
	s_delay_alu instid0(SALU_CYCLE_1)
	s_and_not1_b32 exec_lo, exec_lo, s34
	s_cbranch_execnz .LBB0_139
; %bb.140:                              ;   in Loop: Header=BB0_115 Depth=2
	s_or_b32 exec_lo, exec_lo, s34
	s_branch .LBB0_114
.LBB0_141:                              ;   in Loop: Header=BB0_50 Depth=1
	s_or_b32 exec_lo, exec_lo, s47
.LBB0_142:                              ;   in Loop: Header=BB0_50 Depth=1
	s_delay_alu instid0(SALU_CYCLE_1)
	s_or_b32 exec_lo, exec_lo, s46
	v_mul_f32_e32 v102, v66, v100
	v_mul_f32_e32 v112, v82, v97
	scratch_store_b32 off, v65, s32 offset:32
	v_cvt_f64_f32_e32 v[102:103], v102
	v_cvt_f64_f32_e32 v[112:113], v112
	s_delay_alu instid0(VALU_DEP_1) | instskip(NEXT) | instid1(VALU_DEP_1)
	v_fma_f64 v[102:103], v[112:113], 2.0, v[102:103]
	v_cvt_f32_f64_e32 v102, v[102:103]
	s_and_saveexec_b32 vcc_lo, s20
	s_cbranch_execz .LBB0_144
; %bb.143:                              ;   in Loop: Header=BB0_50 Depth=1
	s_delay_alu instid0(VALU_DEP_1)
	v_mul_f32_e32 v103, v65, v102
	scratch_store_b32 off, v103, s32 offset:60
.LBB0_144:                              ;   in Loop: Header=BB0_50 Depth=1
	s_or_b32 exec_lo, exec_lo, vcc_lo
	v_mul_f32_e32 v100, v80, v100
	v_mul_f32_e32 v103, v68, v97
	s_delay_alu instid0(VALU_DEP_2) | instskip(NEXT) | instid1(VALU_DEP_2)
	v_cvt_f64_f32_e32 v[112:113], v100
	v_cvt_f64_f32_e32 v[114:115], v103
	s_delay_alu instid0(VALU_DEP_1) | instskip(NEXT) | instid1(VALU_DEP_1)
	v_fma_f64 v[112:113], v[114:115], 2.0, v[112:113]
	v_cvt_f32_f64_e32 v100, v[112:113]
	s_and_saveexec_b32 vcc_lo, s21
	s_cbranch_execz .LBB0_146
; %bb.145:                              ;   in Loop: Header=BB0_50 Depth=1
	s_delay_alu instid0(VALU_DEP_1)
	v_mul_f32_e32 v103, v65, v100
	scratch_store_b32 off, v103, s32 offset:36
.LBB0_146:                              ;   in Loop: Header=BB0_50 Depth=1
	s_or_b32 exec_lo, exec_lo, vcc_lo
	s_and_saveexec_b32 vcc_hi, s22
	s_cbranch_execz .LBB0_149
; %bb.147:                              ;   in Loop: Header=BB0_50 Depth=1
	scratch_load_b32 v103, off, s32 offset:60
	s_mov_b32 s30, 1
	s_mov_b32 s31, 0
	;; [unrolled: 1-line block ×3, first 2 shown]
.LBB0_148:                              ;   Parent Loop BB0_50 Depth=1
                                        ; =>  This Inner Loop Header: Depth=2
	scratch_load_b32 v112, off, s34 offset:-56
	v_cvt_f32_i32_e32 v113, s30
	s_add_i32 s30, s30, 1
	s_delay_alu instid0(SALU_CYCLE_1) | instskip(NEXT) | instid1(VALU_DEP_2)
	v_cmp_eq_u32_e32 vcc_lo, s30, v71
	v_mul_f32_e32 v113, v99, v113
	s_waitcnt vmcnt(0)
	s_delay_alu instid0(VALU_DEP_1) | instskip(NEXT) | instid1(VALU_DEP_1)
	v_mul_f32_e32 v112, v112, v113
	v_fmac_f32_e32 v112, v103, v102
	s_delay_alu instid0(VALU_DEP_1) | instskip(SKIP_3) | instid1(SALU_CYCLE_1)
	v_mov_b32_e32 v103, v112
	scratch_store_b32 off, v112, s34
	s_add_i32 s34, s34, 28
	s_or_b32 s31, vcc_lo, s31
	s_and_not1_b32 exec_lo, exec_lo, s31
	s_cbranch_execnz .LBB0_148
.LBB0_149:                              ;   in Loop: Header=BB0_50 Depth=1
	s_or_b32 exec_lo, exec_lo, vcc_hi
	s_and_saveexec_b32 vcc_hi, s23
	s_cbranch_execz .LBB0_152
; %bb.150:                              ;   in Loop: Header=BB0_50 Depth=1
	scratch_load_b32 v99, off, s32 offset:36
	v_mov_b32_e32 v102, v65
	s_mov_b32 s30, 1
	s_mov_b32 s31, 0
	;; [unrolled: 1-line block ×3, first 2 shown]
.LBB0_151:                              ;   Parent Loop BB0_50 Depth=1
                                        ; =>  This Inner Loop Header: Depth=2
	v_cvt_f32_i32_e32 v103, s30
	s_add_i32 s30, s30, 1
	s_waitcnt vmcnt(0)
	v_mov_b32_e32 v112, v99
	v_cmp_eq_u32_e32 vcc_lo, s30, v81
	v_mul_f32_e32 v103, v98, v103
	s_delay_alu instid0(VALU_DEP_1) | instskip(NEXT) | instid1(VALU_DEP_1)
	v_dual_mul_f32 v99, v102, v103 :: v_dual_mov_b32 v102, v112
	v_fmac_f32_e32 v99, v112, v100
	scratch_store_b32 off, v99, s34
	s_add_i32 s34, s34, 4
	s_or_b32 s31, vcc_lo, s31
	s_delay_alu instid0(SALU_CYCLE_1)
	s_and_not1_b32 exec_lo, exec_lo, s31
	s_cbranch_execnz .LBB0_151
.LBB0_152:                              ;   in Loop: Header=BB0_50 Depth=1
	s_or_b32 exec_lo, exec_lo, vcc_hi
	s_and_saveexec_b32 vcc_hi, s40
	s_cbranch_execz .LBB0_158
; %bb.153:                              ;   in Loop: Header=BB0_50 Depth=1
	s_mov_b32 s34, 1
	s_mov_b32 s30, 0
	;; [unrolled: 1-line block ×3, first 2 shown]
	s_set_inst_prefetch_distance 0x1
	s_branch .LBB0_155
	.p2align	6
.LBB0_154:                              ;   in Loop: Header=BB0_155 Depth=2
	s_or_b32 exec_lo, exec_lo, s35
	v_cmp_eq_u32_e32 vcc_lo, s34, v71
	s_add_i32 s34, s34, 1
	s_add_i32 s31, s31, 28
	s_or_b32 s30, vcc_lo, s30
	s_delay_alu instid0(SALU_CYCLE_1)
	s_and_not1_b32 exec_lo, exec_lo, s30
	s_cbranch_execz .LBB0_158
.LBB0_155:                              ;   Parent Loop BB0_50 Depth=1
                                        ; =>  This Loop Header: Depth=2
                                        ;       Child Loop BB0_157 Depth 3
	s_mul_i32 vcc_lo, s34, 28
	s_add_i32 s35, s32, 32
	v_cvt_f32_u32_e32 v99, s34
	s_add_i32 vcc_lo, vcc_lo, s35
	s_clause 0x1
	scratch_load_b32 v103, off, vcc_lo
	scratch_load_b32 v112, off, vcc_lo offset:-28
	s_waitcnt vmcnt(1)
	v_dual_mul_f32 v99, v97, v99 :: v_dual_mul_f32 v102, v103, v100
	s_waitcnt vmcnt(0)
	s_delay_alu instid0(VALU_DEP_1)
	v_fmac_f32_e32 v102, v112, v99
	scratch_store_b32 off, v102, vcc_lo offset:4
	s_and_saveexec_b32 s35, s23
	s_cbranch_execz .LBB0_154
; %bb.156:                              ;   in Loop: Header=BB0_155 Depth=2
	s_mov_b32 s46, 1
	s_mov_b32 s47, 0
	;; [unrolled: 1-line block ×3, first 2 shown]
	.p2align	6
.LBB0_157:                              ;   Parent Loop BB0_50 Depth=1
                                        ;     Parent Loop BB0_155 Depth=2
                                        ; =>    This Inner Loop Header: Depth=3
	scratch_load_b32 v112, off, s48 offset:-32
	v_cvt_f32_i32_e32 v113, s46
	v_mov_b32_e32 v114, v102
	s_add_i32 s46, s46, 1
	s_delay_alu instid0(SALU_CYCLE_1) | instskip(NEXT) | instid1(VALU_DEP_3)
	v_cmp_eq_u32_e32 vcc_lo, s46, v81
	v_mul_f32_e32 v113, v98, v113
	s_delay_alu instid0(VALU_DEP_1) | instskip(SKIP_1) | instid1(VALU_DEP_1)
	v_dual_mul_f32 v102, v103, v113 :: v_dual_mov_b32 v103, v114
	s_waitcnt vmcnt(0)
	v_fmac_f32_e32 v102, v99, v112
	s_delay_alu instid0(VALU_DEP_1) | instskip(SKIP_3) | instid1(SALU_CYCLE_1)
	v_fmac_f32_e32 v102, v114, v100
	scratch_store_b32 off, v102, s48
	s_add_i32 s48, s48, 4
	s_or_b32 s47, vcc_lo, s47
	s_and_not1_b32 exec_lo, exec_lo, s47
	s_cbranch_execnz .LBB0_157
	s_branch .LBB0_154
.LBB0_158:                              ;   in Loop: Header=BB0_50 Depth=1
	s_set_inst_prefetch_distance 0x2
	s_or_b32 exec_lo, exec_lo, vcc_hi
	v_mov_b32_e32 v97, 0
	s_and_saveexec_b32 s46, s24
	s_cbranch_execz .LBB0_49
; %bb.159:                              ;   in Loop: Header=BB0_50 Depth=1
	v_dual_mov_b32 v97, 0 :: v_dual_mov_b32 v98, v87
	s_mov_b32 s47, 0
	s_mov_b32 s48, 0
	s_branch .LBB0_161
.LBB0_160:                              ;   in Loop: Header=BB0_161 Depth=2
	s_or_b32 exec_lo, exec_lo, vcc_hi
	v_cvt_f32_i32_e32 v103, v103
	v_mul_lo_u32 v102, v102, s30
	v_sub_nc_u32_e32 v133, 0, v100
	v_add_nc_u32_e32 v98, -1, v98
	s_delay_alu instid0(VALU_DEP_4) | instskip(NEXT) | instid1(VALU_DEP_3)
	v_cndmask_b32_e64 v103, v103, 1.0, s29
	v_max_i32_e32 v133, v100, v133
	v_xor_b32_e32 v100, v100, v102
	s_delay_alu instid0(VALU_DEP_3) | instskip(NEXT) | instid1(VALU_DEP_2)
	v_cmp_eq_f32_e32 vcc_lo, 0, v103
	v_ashrrev_i32_e32 v100, 31, v100
	v_cndmask_b32_e64 v114, |v11|, 1.0, vcc_lo
	s_delay_alu instid0(VALU_DEP_1) | instskip(NEXT) | instid1(VALU_DEP_1)
	v_frexp_mant_f32_e32 v112, v114
	v_cmp_gt_f32_e64 vcc_hi, 0x3f2aaaab, v112
	s_delay_alu instid0(VALU_DEP_1) | instskip(NEXT) | instid1(VALU_DEP_1)
	v_cndmask_b32_e64 v113, 1.0, 2.0, vcc_hi
	v_mul_f32_e32 v112, v112, v113
	s_delay_alu instid0(VALU_DEP_1) | instskip(SKIP_1) | instid1(VALU_DEP_2)
	v_add_f32_e32 v113, 1.0, v112
	v_add_f32_e32 v116, -1.0, v112
	v_add_f32_e32 v118, -1.0, v113
	s_delay_alu instid0(VALU_DEP_1) | instskip(SKIP_3) | instid1(VALU_DEP_1)
	v_sub_f32_e32 v112, v112, v118
	v_rcp_f32_e32 v115, v113
	s_waitcnt_depctr 0xfff
	v_mul_f32_e32 v117, v116, v115
	v_mul_f32_e32 v119, v113, v117
	s_delay_alu instid0(VALU_DEP_1) | instskip(NEXT) | instid1(VALU_DEP_1)
	v_fma_f32 v113, v117, v113, -v119
	v_fmac_f32_e32 v113, v117, v112
	s_delay_alu instid0(VALU_DEP_1) | instskip(NEXT) | instid1(VALU_DEP_1)
	v_add_f32_e32 v112, v119, v113
	v_sub_f32_e32 v119, v112, v119
	s_delay_alu instid0(VALU_DEP_1) | instskip(NEXT) | instid1(VALU_DEP_1)
	v_dual_sub_f32 v118, v116, v112 :: v_dual_sub_f32 v113, v119, v113
	v_sub_f32_e32 v116, v116, v118
	s_delay_alu instid0(VALU_DEP_1) | instskip(NEXT) | instid1(VALU_DEP_1)
	v_sub_f32_e32 v112, v116, v112
	v_add_f32_e32 v112, v113, v112
	s_delay_alu instid0(VALU_DEP_1) | instskip(NEXT) | instid1(VALU_DEP_1)
	v_add_f32_e32 v112, v118, v112
	v_mul_f32_e32 v112, v115, v112
	s_delay_alu instid0(VALU_DEP_1) | instskip(NEXT) | instid1(VALU_DEP_1)
	v_add_f32_e32 v115, v117, v112
	v_sub_f32_e32 v113, v115, v117
	s_delay_alu instid0(VALU_DEP_1) | instskip(NEXT) | instid1(VALU_DEP_1)
	v_dual_mul_f32 v116, v115, v115 :: v_dual_sub_f32 v117, v112, v113
	v_fma_f32 v118, v115, v115, -v116
	s_delay_alu instid0(VALU_DEP_2) | instskip(NEXT) | instid1(VALU_DEP_1)
	v_add_f32_e32 v112, v117, v117
	v_fmac_f32_e32 v118, v115, v112
	v_cvt_f64_f32_e32 v[112:113], v114
	s_delay_alu instid0(VALU_DEP_2) | instskip(NEXT) | instid1(VALU_DEP_1)
	v_add_f32_e32 v119, v116, v118
	v_fmaak_f32 v128, s44, v119, 0x3e91f4c4
	v_sub_f32_e32 v116, v119, v116
	v_mul_f32_e32 v131, v115, v119
	s_delay_alu instid0(VALU_DEP_3) | instskip(NEXT) | instid1(VALU_DEP_3)
	v_fmaak_f32 v128, v119, v128, 0x3ecccdef
	v_sub_f32_e32 v116, v118, v116
	s_delay_alu instid0(VALU_DEP_2) | instskip(NEXT) | instid1(VALU_DEP_1)
	v_mul_f32_e32 v129, v119, v128
	v_fma_f32 v118, v119, v128, -v129
	s_delay_alu instid0(VALU_DEP_1) | instskip(NEXT) | instid1(VALU_DEP_1)
	v_fmac_f32_e32 v118, v116, v128
	v_add_f32_e32 v128, v129, v118
	v_frexp_exp_i32_f64_e32 v112, v[112:113]
	s_delay_alu instid0(VALU_DEP_2) | instskip(NEXT) | instid1(VALU_DEP_1)
	v_sub_f32_e32 v129, v128, v129
	v_sub_f32_e32 v113, v118, v129
	v_fma_f32 v129, v119, v115, -v131
	s_delay_alu instid0(VALU_DEP_2) | instskip(NEXT) | instid1(VALU_DEP_2)
	v_add_f32_e32 v113, 0x31739010, v113
	v_fmac_f32_e32 v129, v119, v117
	v_ldexp_f32 v117, v117, 1
	s_delay_alu instid0(VALU_DEP_2) | instskip(NEXT) | instid1(VALU_DEP_1)
	v_dual_fmac_f32 v129, v116, v115 :: v_dual_add_f32 v130, 0x3f2aaaaa, v128
	v_add_f32_e32 v118, 0xbf2aaaaa, v130
	s_delay_alu instid0(VALU_DEP_1) | instskip(NEXT) | instid1(VALU_DEP_1)
	v_sub_f32_e32 v118, v128, v118
	v_add_f32_e32 v113, v113, v118
	s_delay_alu instid0(VALU_DEP_1) | instskip(SKIP_1) | instid1(VALU_DEP_2)
	v_add_f32_e32 v116, v130, v113
	v_subrev_co_ci_u32_e64 v112, vcc_hi, 0, v112, vcc_hi
	v_sub_f32_e32 v119, v130, v116
	s_delay_alu instid0(VALU_DEP_2) | instskip(NEXT) | instid1(VALU_DEP_2)
	v_cvt_f32_i32_e32 v112, v112
	v_dual_add_f32 v118, v131, v129 :: v_dual_add_f32 v113, v113, v119
	s_delay_alu instid0(VALU_DEP_1) | instskip(SKIP_1) | instid1(VALU_DEP_2)
	v_mul_f32_e32 v128, v118, v116
	v_sub_f32_e32 v130, v118, v131
	v_fma_f32 v119, v118, v116, -v128
	s_delay_alu instid0(VALU_DEP_2) | instskip(NEXT) | instid1(VALU_DEP_2)
	v_sub_f32_e32 v129, v129, v130
	v_fmac_f32_e32 v119, v118, v113
	v_ldexp_f32 v113, v115, 1
	s_delay_alu instid0(VALU_DEP_2) | instskip(NEXT) | instid1(VALU_DEP_1)
	v_fmac_f32_e32 v119, v129, v116
	v_add_f32_e32 v115, v128, v119
	s_delay_alu instid0(VALU_DEP_1) | instskip(NEXT) | instid1(VALU_DEP_1)
	v_add_f32_e32 v116, v113, v115
	v_dual_sub_f32 v113, v116, v113 :: v_dual_sub_f32 v118, v115, v128
	s_delay_alu instid0(VALU_DEP_1) | instskip(NEXT) | instid1(VALU_DEP_2)
	v_sub_f32_e32 v113, v115, v113
	v_sub_f32_e32 v118, v119, v118
	s_delay_alu instid0(VALU_DEP_1) | instskip(NEXT) | instid1(VALU_DEP_1)
	v_dual_mul_f32 v128, 0x3f317218, v112 :: v_dual_add_f32 v115, v117, v118
	v_fma_f32 v119, 0x3f317218, v112, -v128
	s_delay_alu instid0(VALU_DEP_1) | instskip(NEXT) | instid1(VALU_DEP_1)
	v_dual_fmac_f32 v119, 0xb102e308, v112 :: v_dual_add_f32 v112, v115, v113
	v_add_f32_e32 v113, v128, v119
	s_delay_alu instid0(VALU_DEP_1) | instskip(NEXT) | instid1(VALU_DEP_1)
	v_sub_f32_e32 v128, v113, v128
	v_sub_f32_e32 v119, v119, v128
	s_delay_alu instid0(VALU_DEP_4) | instskip(NEXT) | instid1(VALU_DEP_1)
	v_add_f32_e32 v115, v116, v112
	v_dual_add_f32 v117, v113, v115 :: v_dual_sub_f32 v116, v115, v116
	s_delay_alu instid0(VALU_DEP_1) | instskip(NEXT) | instid1(VALU_DEP_1)
	v_sub_f32_e32 v112, v112, v116
	v_add_f32_e32 v116, v119, v112
	s_delay_alu instid0(VALU_DEP_3) | instskip(NEXT) | instid1(VALU_DEP_1)
	v_sub_f32_e32 v118, v117, v113
	v_sub_f32_e32 v129, v117, v118
	;; [unrolled: 1-line block ×3, first 2 shown]
	s_delay_alu instid0(VALU_DEP_2) | instskip(NEXT) | instid1(VALU_DEP_1)
	v_sub_f32_e32 v113, v113, v129
	v_add_f32_e32 v113, v115, v113
	v_sub_f32_e32 v115, v116, v119
	s_delay_alu instid0(VALU_DEP_2) | instskip(NEXT) | instid1(VALU_DEP_2)
	v_add_f32_e32 v113, v116, v113
	v_sub_f32_e32 v116, v116, v115
	v_sub_f32_e32 v112, v112, v115
	s_delay_alu instid0(VALU_DEP_2) | instskip(NEXT) | instid1(VALU_DEP_1)
	v_dual_add_f32 v118, v117, v113 :: v_dual_sub_f32 v115, v119, v116
	v_sub_f32_e32 v116, v118, v117
	v_sub_nc_u32_e32 v117, 0, v102
	s_delay_alu instid0(VALU_DEP_2) | instskip(NEXT) | instid1(VALU_DEP_1)
	v_dual_sub_f32 v113, v113, v116 :: v_dual_add_f32 v112, v112, v115
	v_add_f32_e32 v112, v112, v113
	s_delay_alu instid0(VALU_DEP_1) | instskip(NEXT) | instid1(VALU_DEP_1)
	v_add_f32_e32 v113, v118, v112
	v_sub_f32_e32 v115, v113, v118
	s_delay_alu instid0(VALU_DEP_1) | instskip(SKIP_3) | instid1(VALU_DEP_3)
	v_sub_f32_e32 v112, v112, v115
	v_mul_f32_e32 v116, v103, v113
	v_max_i32_e32 v115, v102, v117
	v_trunc_f32_e32 v102, v103
	v_fma_f32 v113, v103, v113, -v116
	v_cmp_class_f32_e64 vcc_hi, v116, 0x204
	s_delay_alu instid0(VALU_DEP_4) | instskip(NEXT) | instid1(VALU_DEP_3)
	v_sub_nc_u32_e32 v128, 0, v115
	v_fmac_f32_e32 v113, v103, v112
	v_cvt_f32_u32_e32 v112, v115
	s_delay_alu instid0(VALU_DEP_2) | instskip(NEXT) | instid1(VALU_DEP_2)
	v_add_f32_e32 v117, v116, v113
	v_rcp_iflag_f32_e32 v112, v112
	s_delay_alu instid0(VALU_DEP_1) | instskip(NEXT) | instid1(VALU_DEP_1)
	v_cndmask_b32_e64 v118, v117, v116, vcc_hi
	v_cmp_eq_f32_e64 vcc_hi, 0x42b17218, v118
	s_waitcnt_depctr 0xfff
	v_mul_f32_e32 v112, 0x4f7ffffe, v112
	v_cmp_neq_f32_e64 s30, 0x7f800000, |v118|
	v_cndmask_b32_e64 v119, 0, 0x37000000, vcc_hi
	s_delay_alu instid0(VALU_DEP_3) | instskip(SKIP_1) | instid1(VALU_DEP_3)
	v_cvt_u32_f32_e32 v112, v112
	v_cmp_gt_f32_e64 vcc_hi, 0, v103
	v_sub_f32_e32 v129, v118, v119
	s_delay_alu instid0(VALU_DEP_3) | instskip(NEXT) | instid1(VALU_DEP_2)
	v_mul_lo_u32 v128, v128, v112
	v_mul_f32_e32 v130, 0x3fb8aa3b, v129
	s_delay_alu instid0(VALU_DEP_2) | instskip(NEXT) | instid1(VALU_DEP_2)
	v_mul_hi_u32 v128, v112, v128
	v_fma_f32 v131, 0x3fb8aa3b, v129, -v130
	v_rndne_f32_e32 v132, v130
	s_delay_alu instid0(VALU_DEP_1) | instskip(NEXT) | instid1(VALU_DEP_4)
	v_dual_fmac_f32 v131, 0x32a5705f, v129 :: v_dual_sub_f32 v130, v130, v132
	v_add_nc_u32_e32 v112, v112, v128
	v_sub_f32_e32 v116, v117, v116
	v_cvt_i32_f32_e32 v117, v132
	v_mul_f32_e32 v128, 0.5, v103
	v_add_f32_e32 v130, v130, v131
	v_mul_hi_u32 v112, v133, v112
	v_cndmask_b32_e64 v131, v11, 1.0, vcc_lo
	v_cmp_eq_f32_e32 vcc_lo, v102, v103
	v_sub_f32_e32 v102, v113, v116
	v_exp_f32_e32 v130, v130
	v_trunc_f32_e32 v116, v128
	v_cmp_eq_f32_e64 s31, 0, v131
	s_delay_alu instid0(VALU_DEP_3) | instskip(SKIP_2) | instid1(VALU_DEP_4)
	v_cndmask_b32_e64 v102, 0, v102, s30
	v_cmp_ngt_f32_e64 s30, 0xc2ce8ed0, v129
	v_mul_lo_u32 v103, v112, v115
	s_xor_b32 vcc_hi, vcc_hi, s31
	s_delay_alu instid0(VALU_DEP_3) | instskip(NEXT) | instid1(TRANS32_DEP_1)
	v_add_f32_e32 v102, v119, v102
	v_ldexp_f32 v113, v130, v117
	v_add_nc_u32_e32 v117, 1, v112
	s_delay_alu instid0(VALU_DEP_4) | instskip(NEXT) | instid1(VALU_DEP_3)
	v_sub_nc_u32_e32 v103, v133, v103
	v_cndmask_b32_e64 v113, 0, v113, s30
	v_cmp_nlt_f32_e64 s30, 0x42b17218, v129
	s_delay_alu instid0(VALU_DEP_3) | instskip(NEXT) | instid1(VALU_DEP_2)
	v_cmp_ge_u32_e64 s34, v103, v115
	v_cndmask_b32_e64 v113, 0x7f800000, v113, s30
	v_cmp_neq_f32_e64 s30, v116, v128
	v_sub_nc_u32_e32 v116, v103, v115
	s_delay_alu instid0(VALU_DEP_4) | instskip(NEXT) | instid1(VALU_DEP_4)
	v_cndmask_b32_e64 v112, v112, v117, s34
	v_fma_f32 v102, v113, v102, v113
	v_cmp_class_f32_e64 s35, v113, 0x204
	s_and_b32 s30, vcc_lo, s30
	v_cndmask_b32_e64 v103, v103, v116, s34
	v_cndmask_b32_e64 v117, 1.0, v131, s30
	v_cndmask_b32_e64 v116, 0x7f800000, 0, vcc_hi
	v_cndmask_b32_e64 v102, v102, v113, s35
	v_add_nc_u32_e32 v113, 1, v112
	v_cmp_ge_u32_e64 vcc_hi, v103, v115
	s_delay_alu instid0(VALU_DEP_3) | instskip(SKIP_1) | instid1(VALU_DEP_3)
	v_bfi_b32 v102, 0x7fffffff, v102, v117
	v_cndmask_b32_e64 v117, 0, v131, s30
	v_cndmask_b32_e64 v103, v112, v113, vcc_hi
	s_delay_alu instid0(VALU_DEP_3)
	v_cndmask_b32_e32 v112, 0x7fc00000, v102, vcc_lo
	v_cmp_eq_f32_e32 vcc_lo, 0x7f800000, v114
	v_cmp_gt_f32_e64 vcc_hi, 0, v131
	v_bfi_b32 v113, 0x7fffffff, v116, v117
	v_xor_b32_e32 v103, v103, v100
	s_or_b32 vcc_lo, vcc_lo, s31
	s_delay_alu instid0(VALU_DEP_3) | instskip(NEXT) | instid1(VALU_DEP_2)
	v_cndmask_b32_e64 v102, v102, v112, vcc_hi
	v_sub_nc_u32_e32 v100, v103, v100
	s_delay_alu instid0(VALU_DEP_2) | instskip(SKIP_1) | instid1(VALU_DEP_3)
	v_cndmask_b32_e32 v102, v102, v113, vcc_lo
	v_cmp_o_f32_e32 vcc_lo, v131, v131
	v_cvt_f32_i32_e32 v100, v100
	s_delay_alu instid0(VALU_DEP_3) | instskip(SKIP_2) | instid1(VALU_DEP_2)
	v_cndmask_b32_e32 v102, 0x7fc00000, v102, vcc_lo
	v_cmp_eq_u32_e32 vcc_lo, s48, v53
	s_add_i32 s48, s48, 1
	v_mul_f32_e32 v100, v102, v100
	s_or_b32 s47, vcc_lo, s47
	s_delay_alu instid0(VALU_DEP_1)
	v_fmac_f32_e32 v97, v99, v100
	s_and_not1_b32 exec_lo, exec_lo, s47
	s_cbranch_execz .LBB0_48
.LBB0_161:                              ;   Parent Loop BB0_50 Depth=1
                                        ; =>  This Loop Header: Depth=2
                                        ;       Child Loop BB0_164 Depth 3
                                        ;         Child Loop BB0_166 Depth 4
                                        ;         Child Loop BB0_170 Depth 4
                                        ;         Child Loop BB0_173 Depth 4
                                        ;       Child Loop BB0_177 Depth 3
                                        ;       Child Loop BB0_182 Depth 3
	;; [unrolled: 1-line block ×3, first 2 shown]
	v_mov_b32_e32 v99, 0
	s_and_saveexec_b32 s49, s25
	s_cbranch_execz .LBB0_175
; %bb.162:                              ;   in Loop: Header=BB0_161 Depth=2
	v_dual_mov_b32 v99, 0 :: v_dual_add_nc_u32 v100, s48, v37
	v_mov_b32_e32 v102, v86
	s_mov_b32 s50, 0
	s_mov_b32 s51, 0
	s_delay_alu instid0(VALU_DEP_2)
	v_lshlrev_b32_e32 v100, 2, v100
	s_branch .LBB0_164
.LBB0_163:                              ;   in Loop: Header=BB0_164 Depth=3
	s_or_b32 exec_lo, exec_lo, vcc_hi
	v_cvt_f32_i32_e32 v113, v113
	s_add_i32 s31, s32, 32
	v_mul_lo_u32 v112, v112, s30
	v_sub_nc_u32_e32 v144, 0, v103
	v_add_nc_u32_e32 v130, s51, v50
	v_cndmask_b32_e64 v115, v113, 1.0, s27
	v_add_nc_u32_e32 v102, -1, v102
	s_delay_alu instid0(VALU_DEP_4) | instskip(NEXT) | instid1(VALU_DEP_3)
	v_max_i32_e32 v144, v103, v144
	v_cmp_eq_f32_e32 vcc_lo, 0, v115
	v_xor_b32_e32 v103, v103, v112
	v_cndmask_b32_e64 v116, |v10|, 1.0, vcc_lo
	s_delay_alu instid0(VALU_DEP_2) | instskip(NEXT) | instid1(VALU_DEP_2)
	v_ashrrev_i32_e32 v103, 31, v103
	v_frexp_mant_f32_e32 v113, v116
	s_delay_alu instid0(VALU_DEP_1) | instskip(NEXT) | instid1(VALU_DEP_1)
	v_cmp_gt_f32_e64 vcc_hi, 0x3f2aaaab, v113
	v_cndmask_b32_e64 v114, 1.0, 2.0, vcc_hi
	s_delay_alu instid0(VALU_DEP_1) | instskip(NEXT) | instid1(VALU_DEP_1)
	v_mul_f32_e32 v113, v113, v114
	v_add_f32_e32 v114, 1.0, v113
	v_add_f32_e32 v118, -1.0, v113
	s_delay_alu instid0(VALU_DEP_2) | instskip(NEXT) | instid1(VALU_DEP_1)
	v_add_f32_e32 v128, -1.0, v114
	v_sub_f32_e32 v113, v113, v128
	v_rcp_f32_e32 v117, v114
	s_waitcnt_depctr 0xfff
	v_mul_f32_e32 v119, v118, v117
	s_delay_alu instid0(VALU_DEP_1) | instskip(NEXT) | instid1(VALU_DEP_1)
	v_mul_f32_e32 v129, v114, v119
	v_fma_f32 v114, v119, v114, -v129
	s_delay_alu instid0(VALU_DEP_1) | instskip(NEXT) | instid1(VALU_DEP_1)
	v_fmac_f32_e32 v114, v119, v113
	v_add_f32_e32 v113, v129, v114
	s_delay_alu instid0(VALU_DEP_1) | instskip(NEXT) | instid1(VALU_DEP_1)
	v_sub_f32_e32 v128, v118, v113
	v_dual_sub_f32 v129, v113, v129 :: v_dual_sub_f32 v118, v118, v128
	s_delay_alu instid0(VALU_DEP_1) | instskip(SKIP_1) | instid1(VALU_DEP_2)
	v_dual_sub_f32 v114, v129, v114 :: v_dual_sub_f32 v113, v118, v113
	v_mul_lo_u32 v118, v130, 28
	v_add_f32_e32 v113, v114, v113
	s_delay_alu instid0(VALU_DEP_2) | instskip(NEXT) | instid1(VALU_DEP_2)
	v_add3_u32 v114, s31, v118, v100
	v_add_f32_e32 v113, v128, v113
	s_delay_alu instid0(VALU_DEP_1) | instskip(SKIP_2) | instid1(VALU_DEP_1)
	v_mul_f32_e32 v113, v117, v113
	scratch_load_b32 v117, v114, off
	v_add_f32_e32 v118, v119, v113
	v_sub_f32_e32 v114, v118, v119
	s_delay_alu instid0(VALU_DEP_1) | instskip(NEXT) | instid1(VALU_DEP_1)
	v_sub_f32_e32 v128, v113, v114
	v_add_f32_e32 v113, v128, v128
	v_mul_f32_e32 v119, v118, v118
	s_delay_alu instid0(VALU_DEP_1) | instskip(NEXT) | instid1(VALU_DEP_1)
	v_fma_f32 v129, v118, v118, -v119
	v_fmac_f32_e32 v129, v118, v113
	v_cvt_f64_f32_e32 v[113:114], v116
	s_delay_alu instid0(VALU_DEP_2) | instskip(NEXT) | instid1(VALU_DEP_1)
	v_add_f32_e32 v130, v119, v129
	v_sub_f32_e32 v119, v130, v119
	s_delay_alu instid0(VALU_DEP_1) | instskip(SKIP_2) | instid1(VALU_DEP_2)
	v_sub_f32_e32 v119, v129, v119
	v_fmaak_f32 v131, s44, v130, 0x3e91f4c4
	v_mul_f32_e32 v134, v118, v130
	v_fmaak_f32 v131, v130, v131, 0x3ecccdef
	s_delay_alu instid0(VALU_DEP_1) | instskip(NEXT) | instid1(VALU_DEP_1)
	v_mul_f32_e32 v132, v130, v131
	v_fma_f32 v129, v130, v131, -v132
	s_delay_alu instid0(VALU_DEP_1) | instskip(SKIP_1) | instid1(VALU_DEP_2)
	v_fmac_f32_e32 v129, v119, v131
	v_frexp_exp_i32_f64_e32 v113, v[113:114]
	v_add_f32_e32 v131, v132, v129
	s_delay_alu instid0(VALU_DEP_1) | instskip(NEXT) | instid1(VALU_DEP_1)
	v_sub_f32_e32 v132, v131, v132
	v_sub_f32_e32 v114, v129, v132
	v_fma_f32 v132, v130, v118, -v134
	s_delay_alu instid0(VALU_DEP_2) | instskip(NEXT) | instid1(VALU_DEP_2)
	v_add_f32_e32 v114, 0x31739010, v114
	v_fmac_f32_e32 v132, v130, v128
	v_ldexp_f32 v128, v128, 1
	s_delay_alu instid0(VALU_DEP_2) | instskip(NEXT) | instid1(VALU_DEP_1)
	v_dual_fmac_f32 v132, v119, v118 :: v_dual_add_f32 v133, 0x3f2aaaaa, v131
	v_add_f32_e32 v129, 0xbf2aaaaa, v133
	s_delay_alu instid0(VALU_DEP_1) | instskip(SKIP_1) | instid1(VALU_DEP_2)
	v_sub_f32_e32 v129, v131, v129
	v_subrev_co_ci_u32_e64 v113, vcc_hi, 0, v113, vcc_hi
	v_add_f32_e32 v114, v114, v129
	s_delay_alu instid0(VALU_DEP_2) | instskip(NEXT) | instid1(VALU_DEP_2)
	v_cvt_f32_i32_e32 v113, v113
	v_add_f32_e32 v119, v133, v114
	s_delay_alu instid0(VALU_DEP_1) | instskip(NEXT) | instid1(VALU_DEP_1)
	v_dual_add_f32 v129, v134, v132 :: v_dual_sub_f32 v130, v133, v119
	v_sub_f32_e32 v133, v129, v134
	s_delay_alu instid0(VALU_DEP_2) | instskip(NEXT) | instid1(VALU_DEP_2)
	v_add_f32_e32 v114, v114, v130
	v_dual_sub_f32 v132, v132, v133 :: v_dual_mul_f32 v131, v129, v119
	s_delay_alu instid0(VALU_DEP_1) | instskip(NEXT) | instid1(VALU_DEP_1)
	v_fma_f32 v130, v129, v119, -v131
	v_fmac_f32_e32 v130, v129, v114
	v_ldexp_f32 v114, v118, 1
	s_delay_alu instid0(VALU_DEP_2) | instskip(NEXT) | instid1(VALU_DEP_1)
	v_fmac_f32_e32 v130, v132, v119
	v_add_f32_e32 v118, v131, v130
	s_delay_alu instid0(VALU_DEP_1) | instskip(NEXT) | instid1(VALU_DEP_1)
	v_add_f32_e32 v119, v114, v118
	v_dual_sub_f32 v114, v119, v114 :: v_dual_sub_f32 v129, v118, v131
	s_delay_alu instid0(VALU_DEP_1) | instskip(NEXT) | instid1(VALU_DEP_2)
	v_dual_mul_f32 v131, 0x3f317218, v113 :: v_dual_sub_f32 v114, v118, v114
	v_sub_f32_e32 v129, v130, v129
	s_delay_alu instid0(VALU_DEP_2) | instskip(NEXT) | instid1(VALU_DEP_2)
	v_fma_f32 v130, 0x3f317218, v113, -v131
	v_add_f32_e32 v118, v128, v129
	s_delay_alu instid0(VALU_DEP_1) | instskip(NEXT) | instid1(VALU_DEP_1)
	v_dual_fmac_f32 v130, 0xb102e308, v113 :: v_dual_add_f32 v113, v118, v114
	v_add_f32_e32 v114, v131, v130
	s_delay_alu instid0(VALU_DEP_1) | instskip(NEXT) | instid1(VALU_DEP_1)
	v_dual_add_f32 v118, v119, v113 :: v_dual_sub_f32 v131, v114, v131
	v_add_f32_e32 v128, v114, v118
	s_delay_alu instid0(VALU_DEP_1) | instskip(NEXT) | instid1(VALU_DEP_1)
	v_dual_sub_f32 v130, v130, v131 :: v_dual_sub_f32 v129, v128, v114
	v_dual_sub_f32 v119, v118, v119 :: v_dual_sub_f32 v132, v128, v129
	s_delay_alu instid0(VALU_DEP_1) | instskip(NEXT) | instid1(VALU_DEP_2)
	v_dual_sub_f32 v113, v113, v119 :: v_dual_sub_f32 v118, v118, v129
	v_sub_f32_e32 v114, v114, v132
	s_delay_alu instid0(VALU_DEP_2) | instskip(NEXT) | instid1(VALU_DEP_2)
	v_add_f32_e32 v119, v130, v113
	v_add_f32_e32 v114, v118, v114
	s_delay_alu instid0(VALU_DEP_2) | instskip(NEXT) | instid1(VALU_DEP_2)
	v_sub_f32_e32 v118, v119, v130
	v_add_f32_e32 v114, v119, v114
	s_delay_alu instid0(VALU_DEP_2) | instskip(SKIP_1) | instid1(VALU_DEP_2)
	v_sub_f32_e32 v119, v119, v118
	v_sub_f32_e32 v113, v113, v118
	v_dual_add_f32 v129, v128, v114 :: v_dual_sub_f32 v118, v130, v119
	s_delay_alu instid0(VALU_DEP_1) | instskip(NEXT) | instid1(VALU_DEP_2)
	v_sub_f32_e32 v119, v129, v128
	v_add_f32_e32 v113, v113, v118
	v_sub_nc_u32_e32 v128, 0, v112
	s_delay_alu instid0(VALU_DEP_3) | instskip(NEXT) | instid1(VALU_DEP_1)
	v_sub_f32_e32 v114, v114, v119
	v_add_f32_e32 v113, v113, v114
	s_delay_alu instid0(VALU_DEP_1) | instskip(NEXT) | instid1(VALU_DEP_1)
	v_add_f32_e32 v114, v129, v113
	v_dual_sub_f32 v118, v114, v129 :: v_dual_mul_f32 v119, v115, v114
	s_delay_alu instid0(VALU_DEP_1) | instskip(NEXT) | instid1(VALU_DEP_2)
	v_sub_f32_e32 v113, v113, v118
	v_fma_f32 v114, v115, v114, -v119
	v_max_i32_e32 v118, v112, v128
	v_cmp_class_f32_e64 vcc_hi, v119, 0x204
	v_trunc_f32_e32 v112, v115
	s_delay_alu instid0(VALU_DEP_4) | instskip(NEXT) | instid1(VALU_DEP_4)
	v_fmac_f32_e32 v114, v115, v113
	v_cvt_f32_u32_e32 v113, v118
	v_sub_nc_u32_e32 v131, 0, v118
	s_delay_alu instid0(VALU_DEP_2) | instskip(SKIP_2) | instid1(VALU_DEP_1)
	v_rcp_iflag_f32_e32 v113, v113
	s_waitcnt_depctr 0xfff
	v_mul_f32_e32 v113, 0x4f7ffffe, v113
	v_cvt_u32_f32_e32 v113, v113
	s_delay_alu instid0(VALU_DEP_1) | instskip(NEXT) | instid1(VALU_DEP_1)
	v_mul_lo_u32 v131, v131, v113
	v_mul_hi_u32 v131, v113, v131
	s_delay_alu instid0(VALU_DEP_1) | instskip(NEXT) | instid1(VALU_DEP_1)
	v_dual_add_f32 v128, v119, v114 :: v_dual_add_nc_u32 v113, v113, v131
	v_cndmask_b32_e64 v129, v128, v119, vcc_hi
	s_delay_alu instid0(VALU_DEP_2) | instskip(NEXT) | instid1(VALU_DEP_2)
	v_mul_hi_u32 v113, v144, v113
	v_cmp_eq_f32_e64 vcc_hi, 0x42b17218, v129
	v_cmp_neq_f32_e64 s30, 0x7f800000, |v129|
	v_mul_f32_e32 v131, 0.5, v115
	s_delay_alu instid0(VALU_DEP_3) | instskip(SKIP_2) | instid1(VALU_DEP_3)
	v_cndmask_b32_e64 v130, 0, 0x37000000, vcc_hi
	v_sub_f32_e32 v119, v128, v119
	v_cmp_gt_f32_e64 vcc_hi, 0, v115
	v_sub_f32_e32 v132, v129, v130
	s_delay_alu instid0(VALU_DEP_1) | instskip(NEXT) | instid1(VALU_DEP_1)
	v_mul_f32_e32 v133, 0x3fb8aa3b, v132
	v_fma_f32 v134, 0x3fb8aa3b, v132, -v133
	v_rndne_f32_e32 v135, v133
	s_delay_alu instid0(VALU_DEP_1) | instskip(SKIP_1) | instid1(VALU_DEP_2)
	v_dual_fmac_f32 v134, 0x32a5705f, v132 :: v_dual_sub_f32 v133, v133, v135
	v_cvt_i32_f32_e32 v128, v135
	v_add_f32_e32 v133, v133, v134
	v_cndmask_b32_e64 v134, v10, 1.0, vcc_lo
	v_cmp_eq_f32_e32 vcc_lo, v112, v115
	v_sub_f32_e32 v112, v114, v119
	v_mul_lo_u32 v114, v113, v118
	v_exp_f32_e32 v133, v133
	v_cmp_eq_f32_e64 s31, 0, v134
	s_delay_alu instid0(VALU_DEP_3) | instskip(SKIP_1) | instid1(VALU_DEP_3)
	v_cndmask_b32_e64 v112, 0, v112, s30
	v_cmp_ngt_f32_e64 s30, 0xc2ce8ed0, v132
	s_xor_b32 vcc_hi, vcc_hi, s31
	s_delay_alu instid0(VALU_DEP_4) | instskip(NEXT) | instid1(VALU_DEP_3)
	v_sub_nc_u32_e32 v114, v144, v114
	v_add_f32_e32 v112, v130, v112
	s_waitcnt_depctr 0xfff
	v_ldexp_f32 v115, v133, v128
	v_add_nc_u32_e32 v128, 1, v113
	v_trunc_f32_e32 v119, v131
	v_cmp_ge_u32_e64 s34, v114, v118
	s_delay_alu instid0(VALU_DEP_4) | instskip(SKIP_1) | instid1(VALU_DEP_3)
	v_cndmask_b32_e64 v115, 0, v115, s30
	v_cmp_nlt_f32_e64 s30, 0x42b17218, v132
	v_cndmask_b32_e64 v113, v113, v128, s34
	s_delay_alu instid0(VALU_DEP_2) | instskip(SKIP_2) | instid1(VALU_DEP_3)
	v_cndmask_b32_e64 v115, 0x7f800000, v115, s30
	v_cmp_neq_f32_e64 s30, v119, v131
	v_sub_nc_u32_e32 v119, v114, v118
	v_fma_f32 v112, v115, v112, v115
	v_cmp_class_f32_e64 s35, v115, 0x204
	s_delay_alu instid0(VALU_DEP_4) | instskip(NEXT) | instid1(VALU_DEP_3)
	s_and_b32 s30, vcc_lo, s30
	v_cndmask_b32_e64 v114, v114, v119, s34
	v_cndmask_b32_e64 v128, 1.0, v134, s30
	v_cndmask_b32_e64 v119, 0x7f800000, 0, vcc_hi
	v_cndmask_b32_e64 v112, v112, v115, s35
	s_delay_alu instid0(VALU_DEP_4) | instskip(NEXT) | instid1(VALU_DEP_2)
	v_cmp_ge_u32_e64 vcc_hi, v114, v118
	v_bfi_b32 v112, 0x7fffffff, v112, v128
	v_add_nc_u32_e32 v115, 1, v113
	v_cndmask_b32_e64 v128, 0, v134, s30
	s_delay_alu instid0(VALU_DEP_3) | instskip(NEXT) | instid1(VALU_DEP_3)
	v_cndmask_b32_e32 v114, 0x7fc00000, v112, vcc_lo
	v_cndmask_b32_e64 v113, v113, v115, vcc_hi
	v_cmp_eq_f32_e32 vcc_lo, 0x7f800000, v116
	v_cmp_gt_f32_e64 vcc_hi, 0, v134
	v_bfi_b32 v115, 0x7fffffff, v119, v128
	s_delay_alu instid0(VALU_DEP_4) | instskip(SKIP_1) | instid1(VALU_DEP_3)
	v_xor_b32_e32 v113, v113, v103
	s_or_b32 vcc_lo, vcc_lo, s31
	v_cndmask_b32_e64 v112, v112, v114, vcc_hi
	s_delay_alu instid0(VALU_DEP_2) | instskip(NEXT) | instid1(VALU_DEP_2)
	v_sub_nc_u32_e32 v103, v113, v103
	v_cndmask_b32_e32 v112, v112, v115, vcc_lo
	v_cmp_o_f32_e32 vcc_lo, v134, v134
	s_delay_alu instid0(VALU_DEP_3) | instskip(NEXT) | instid1(VALU_DEP_3)
	v_cvt_f32_i32_e32 v103, v103
	v_cndmask_b32_e32 v112, 0x7fc00000, v112, vcc_lo
	v_cmp_eq_u32_e32 vcc_lo, s51, v32
	s_add_i32 s51, s51, 1
	s_delay_alu instid0(VALU_DEP_2) | instskip(SKIP_2) | instid1(VALU_DEP_1)
	v_mul_f32_e32 v103, v112, v103
	s_or_b32 s50, vcc_lo, s50
	s_waitcnt vmcnt(0)
	v_fmac_f32_e32 v99, v117, v103
	s_and_not1_b32 exec_lo, exec_lo, s50
	s_cbranch_execz .LBB0_179
.LBB0_164:                              ;   Parent Loop BB0_50 Depth=1
                                        ;     Parent Loop BB0_161 Depth=2
                                        ; =>    This Loop Header: Depth=3
                                        ;         Child Loop BB0_166 Depth 4
                                        ;         Child Loop BB0_170 Depth 4
	;; [unrolled: 1-line block ×3, first 2 shown]
	v_mov_b32_e32 v103, 1
	s_and_saveexec_b32 vcc_hi, s26
	s_cbranch_execz .LBB0_168
; %bb.165:                              ;   in Loop: Header=BB0_164 Depth=3
	s_mov_b32 s31, 1
	s_mov_b32 s30, 0
	;; [unrolled: 1-line block ×3, first 2 shown]
.LBB0_166:                              ;   Parent Loop BB0_50 Depth=1
                                        ;     Parent Loop BB0_161 Depth=2
                                        ;       Parent Loop BB0_164 Depth=3
                                        ; =>      This Inner Loop Header: Depth=4
	s_add_i32 s31, s31, 1
	s_delay_alu instid0(SALU_CYCLE_1) | instskip(SKIP_1) | instid1(SALU_CYCLE_1)
	v_cmp_eq_u32_e32 vcc_lo, s31, v32
	s_mul_i32 s34, s34, s31
	v_mov_b32_e32 v103, s34
	s_or_b32 s30, vcc_lo, s30
	s_delay_alu instid0(SALU_CYCLE_1)
	s_and_not1_b32 exec_lo, exec_lo, s30
	s_cbranch_execnz .LBB0_166
; %bb.167:                              ;   in Loop: Header=BB0_164 Depth=3
	s_or_b32 exec_lo, exec_lo, s30
.LBB0_168:                              ;   in Loop: Header=BB0_164 Depth=3
	s_delay_alu instid0(SALU_CYCLE_1)
	s_or_b32 exec_lo, exec_lo, vcc_hi
	s_cmp_lt_u32 s51, 2
	s_mov_b32 s30, 1
	s_cbranch_scc1 .LBB0_171
; %bb.169:                              ;   in Loop: Header=BB0_164 Depth=3
	s_mov_b32 vcc_lo, 1
.LBB0_170:                              ;   Parent Loop BB0_50 Depth=1
                                        ;     Parent Loop BB0_161 Depth=2
                                        ;       Parent Loop BB0_164 Depth=3
                                        ; =>      This Inner Loop Header: Depth=4
	s_delay_alu instid0(SALU_CYCLE_1) | instskip(NEXT) | instid1(SALU_CYCLE_1)
	s_add_i32 vcc_lo, vcc_lo, 1
	s_cmp_lg_u32 s51, vcc_lo
	s_mul_i32 s30, s30, vcc_lo
	s_cbranch_scc1 .LBB0_170
.LBB0_171:                              ;   in Loop: Header=BB0_164 Depth=3
	v_subrev_nc_u32_e32 v113, s51, v32
	v_mov_b32_e32 v112, 1
	s_mov_b32 s31, 1
	s_mov_b32 vcc_hi, exec_lo
	s_delay_alu instid0(VALU_DEP_2)
	v_cmpx_lt_i32_e32 1, v113
	s_cbranch_execz .LBB0_163
; %bb.172:                              ;   in Loop: Header=BB0_164 Depth=3
	s_mov_b32 s34, 0
	s_mov_b32 s35, 0
.LBB0_173:                              ;   Parent Loop BB0_50 Depth=1
                                        ;     Parent Loop BB0_161 Depth=2
                                        ;       Parent Loop BB0_164 Depth=3
                                        ; =>      This Inner Loop Header: Depth=4
	s_delay_alu instid0(SALU_CYCLE_1)
	s_add_i32 s52, s35, 2
	s_add_i32 s35, s35, 1
	s_mul_i32 s31, s31, s52
	v_cmp_eq_u32_e32 vcc_lo, s35, v102
	v_mov_b32_e32 v112, s31
	s_or_b32 s34, vcc_lo, s34
	s_delay_alu instid0(SALU_CYCLE_1)
	s_and_not1_b32 exec_lo, exec_lo, s34
	s_cbranch_execnz .LBB0_173
; %bb.174:                              ;   in Loop: Header=BB0_164 Depth=3
	s_or_b32 exec_lo, exec_lo, s34
	s_branch .LBB0_163
.LBB0_175:                              ;   in Loop: Header=BB0_161 Depth=2
	s_or_b32 exec_lo, exec_lo, s49
	v_mov_b32_e32 v100, 1
	s_and_saveexec_b32 vcc_hi, s28
	s_cbranch_execz .LBB0_180
.LBB0_176:                              ;   in Loop: Header=BB0_161 Depth=2
	s_mov_b32 s31, 1
	s_mov_b32 s30, 0
	;; [unrolled: 1-line block ×3, first 2 shown]
.LBB0_177:                              ;   Parent Loop BB0_50 Depth=1
                                        ;     Parent Loop BB0_161 Depth=2
                                        ; =>    This Inner Loop Header: Depth=3
	s_add_i32 s31, s31, 1
	s_delay_alu instid0(SALU_CYCLE_1) | instskip(SKIP_1) | instid1(SALU_CYCLE_1)
	v_cmp_eq_u32_e32 vcc_lo, s31, v53
	s_mul_i32 s34, s34, s31
	v_mov_b32_e32 v100, s34
	s_or_b32 s30, vcc_lo, s30
	s_delay_alu instid0(SALU_CYCLE_1)
	s_and_not1_b32 exec_lo, exec_lo, s30
	s_cbranch_execnz .LBB0_177
; %bb.178:                              ;   in Loop: Header=BB0_161 Depth=2
	s_or_b32 exec_lo, exec_lo, s30
	s_delay_alu instid0(SALU_CYCLE_1)
	s_or_b32 exec_lo, exec_lo, vcc_hi
	s_cmp_lt_u32 s48, 2
	s_mov_b32 s30, 1
	s_cbranch_scc1 .LBB0_183
	s_branch .LBB0_181
.LBB0_179:                              ;   in Loop: Header=BB0_161 Depth=2
	s_or_b32 exec_lo, exec_lo, s50
	s_delay_alu instid0(SALU_CYCLE_1)
	s_or_b32 exec_lo, exec_lo, s49
	v_mov_b32_e32 v100, 1
	s_and_saveexec_b32 vcc_hi, s28
	s_cbranch_execnz .LBB0_176
.LBB0_180:                              ;   in Loop: Header=BB0_161 Depth=2
	s_or_b32 exec_lo, exec_lo, vcc_hi
	s_cmp_lt_u32 s48, 2
	s_mov_b32 s30, 1
	s_cbranch_scc1 .LBB0_183
.LBB0_181:                              ;   in Loop: Header=BB0_161 Depth=2
	s_mov_b32 vcc_lo, 1
.LBB0_182:                              ;   Parent Loop BB0_50 Depth=1
                                        ;     Parent Loop BB0_161 Depth=2
                                        ; =>    This Inner Loop Header: Depth=3
	s_delay_alu instid0(SALU_CYCLE_1) | instskip(NEXT) | instid1(SALU_CYCLE_1)
	s_add_i32 vcc_lo, vcc_lo, 1
	s_cmp_lg_u32 s48, vcc_lo
	s_mul_i32 s30, s30, vcc_lo
	s_cbranch_scc1 .LBB0_182
.LBB0_183:                              ;   in Loop: Header=BB0_161 Depth=2
	v_subrev_nc_u32_e32 v103, s48, v53
	v_mov_b32_e32 v102, 1
	s_mov_b32 s31, 1
	s_mov_b32 vcc_hi, exec_lo
	s_delay_alu instid0(VALU_DEP_2)
	v_cmpx_lt_i32_e32 1, v103
	s_cbranch_execz .LBB0_160
; %bb.184:                              ;   in Loop: Header=BB0_161 Depth=2
	s_mov_b32 s34, 0
	s_mov_b32 s35, 0
.LBB0_185:                              ;   Parent Loop BB0_50 Depth=1
                                        ;     Parent Loop BB0_161 Depth=2
                                        ; =>    This Inner Loop Header: Depth=3
	s_delay_alu instid0(SALU_CYCLE_1)
	s_add_i32 s49, s35, 2
	s_add_i32 s35, s35, 1
	s_mul_i32 s31, s31, s49
	v_cmp_eq_u32_e32 vcc_lo, s35, v98
	v_mov_b32_e32 v102, s31
	s_or_b32 s34, vcc_lo, s34
	s_delay_alu instid0(SALU_CYCLE_1)
	s_and_not1_b32 exec_lo, exec_lo, s34
	s_cbranch_execnz .LBB0_185
; %bb.186:                              ;   in Loop: Header=BB0_161 Depth=2
	s_or_b32 exec_lo, exec_lo, s34
	s_branch .LBB0_160
.LBB0_187:
	s_and_not1_saveexec_b32 s5, s5
	s_cbranch_execz .LBB0_44
.LBB0_188:
                                        ; implicit-def: $vgpr116
                                        ; implicit-def: $vgpr15
                                        ; implicit-def: $vgpr14
                                        ; implicit-def: $vgpr13
	s_mov_b32 s0, exec_lo
	v_cmpx_ngt_f32_e32 0x34a10fb0, v115
	s_xor_b32 s6, exec_lo, s0
                                        ; implicit-def: $vgpr0_vgpr1_vgpr2_vgpr3_vgpr4_vgpr5_vgpr6
                                        ; implicit-def: $vgpr6_vgpr7_vgpr8_vgpr9_vgpr10_vgpr11_vgpr12
	s_cbranch_execz .LBB0_307
; %bb.189:
                                        ; implicit-def: $vgpr116
                                        ; implicit-def: $vgpr15
                                        ; implicit-def: $vgpr14
                                        ; implicit-def: $vgpr13
	s_mov_b32 s0, exec_lo
	v_cmpx_ngt_f32_e32 1.0, v115
	s_xor_b32 s7, exec_lo, s0
                                        ; implicit-def: $vgpr0_vgpr1_vgpr2_vgpr3_vgpr4_vgpr5_vgpr6
                                        ; implicit-def: $vgpr6_vgpr7_vgpr8_vgpr9_vgpr10_vgpr11_vgpr12
	s_cbranch_execz .LBB0_293
; %bb.190:
                                        ; implicit-def: $vgpr116
                                        ; implicit-def: $vgpr15
                                        ; implicit-def: $vgpr14
                                        ; implicit-def: $vgpr13
	s_mov_b32 s0, exec_lo
	v_cmpx_ngt_f32_e32 0x40400000, v115
	s_xor_b32 s8, exec_lo, s0
                                        ; implicit-def: $vgpr0_vgpr1_vgpr2_vgpr3_vgpr4_vgpr5_vgpr6
                                        ; implicit-def: $vgpr6_vgpr7_vgpr8_vgpr9_vgpr10_vgpr11_vgpr12
	s_cbranch_execz .LBB0_279
; %bb.191:
                                        ; implicit-def: $vgpr116
                                        ; implicit-def: $vgpr15
                                        ; implicit-def: $vgpr14
                                        ; implicit-def: $vgpr13
	s_mov_b32 s0, exec_lo
	v_cmpx_ngt_f32_e32 0x40a00000, v115
	;; [unrolled: 11-line block ×5, first 2 shown]
	s_xor_b32 s3, exec_lo, s0
                                        ; implicit-def: $vgpr0_vgpr1_vgpr2_vgpr3_vgpr4_vgpr5_vgpr6
                                        ; implicit-def: $vgpr6_vgpr7_vgpr8_vgpr9_vgpr10_vgpr11_vgpr12
	s_cbranch_execz .LBB0_216
; %bb.195:
	v_div_scale_f32 v0, null, v115, v115, 0x3f490fdb
	v_div_scale_f32 v3, vcc_lo, 0x3f490fdb, v115, 0x3f490fdb
                                        ; implicit-def: $vgpr116
                                        ; implicit-def: $vgpr15
                                        ; implicit-def: $vgpr13
	s_delay_alu instid0(VALU_DEP_2) | instskip(SKIP_2) | instid1(VALU_DEP_1)
	v_rcp_f32_e32 v1, v0
	s_waitcnt_depctr 0xfff
	v_fma_f32 v2, -v0, v1, 1.0
	v_fmac_f32_e32 v1, v2, v1
	s_delay_alu instid0(VALU_DEP_1) | instskip(NEXT) | instid1(VALU_DEP_1)
	v_mul_f32_e32 v2, v3, v1
	v_fma_f32 v4, -v0, v2, v3
	s_delay_alu instid0(VALU_DEP_1) | instskip(NEXT) | instid1(VALU_DEP_1)
	v_fmac_f32_e32 v2, v4, v1
	v_fma_f32 v0, -v0, v2, v3
	s_delay_alu instid0(VALU_DEP_1) | instskip(NEXT) | instid1(VALU_DEP_1)
	v_div_fmas_f32 v0, v0, v1, v2
	v_div_fixup_f32 v0, v0, v115, 0x3f490fdb
	s_delay_alu instid0(VALU_DEP_1) | instskip(SKIP_1) | instid1(VALU_DEP_2)
	v_mul_f32_e32 v1, 0x4f800000, v0
	v_cmp_gt_f32_e32 vcc_lo, 0xf800000, v0
	v_cndmask_b32_e32 v0, v0, v1, vcc_lo
	s_delay_alu instid0(VALU_DEP_1) | instskip(SKIP_3) | instid1(VALU_DEP_2)
	v_sqrt_f32_e32 v1, v0
	s_waitcnt_depctr 0xfff
	v_add_nc_u32_e32 v2, -1, v1
	v_add_nc_u32_e32 v3, 1, v1
	v_fma_f32 v4, -v2, v1, v0
	s_delay_alu instid0(VALU_DEP_2) | instskip(NEXT) | instid1(VALU_DEP_2)
	v_fma_f32 v5, -v3, v1, v0
	v_cmp_ge_f32_e64 s0, 0, v4
	s_delay_alu instid0(VALU_DEP_1) | instskip(NEXT) | instid1(VALU_DEP_3)
	v_cndmask_b32_e64 v1, v1, v2, s0
	v_cmp_lt_f32_e64 s0, 0, v5
	s_delay_alu instid0(VALU_DEP_1) | instskip(SKIP_1) | instid1(VALU_DEP_1)
	v_cndmask_b32_e64 v1, v1, v3, s0
	s_mov_b32 s0, exec_lo
	v_mul_f32_e32 v2, 0x37800000, v1
	s_delay_alu instid0(VALU_DEP_1) | instskip(SKIP_1) | instid1(VALU_DEP_2)
	v_cndmask_b32_e32 v1, v1, v2, vcc_lo
	v_cmp_class_f32_e64 vcc_lo, v0, 0x260
	v_cndmask_b32_e32 v14, v1, v0, vcc_lo
	v_cmpx_lt_i32_e32 0, v64
	s_xor_b32 s12, exec_lo, s0
                                        ; implicit-def: $vgpr0_vgpr1_vgpr2_vgpr3_vgpr4_vgpr5_vgpr6
                                        ; implicit-def: $vgpr6_vgpr7_vgpr8_vgpr9_vgpr10_vgpr11_vgpr12
	s_cbranch_execz .LBB0_211
; %bb.196:
                                        ; implicit-def: $vgpr116
                                        ; implicit-def: $vgpr15
                                        ; implicit-def: $vgpr13
	s_mov_b32 s0, exec_lo
	v_cmpx_lt_i32_e32 1, v64
	s_xor_b32 s13, exec_lo, s0
                                        ; implicit-def: $vgpr0_vgpr1_vgpr2_vgpr3_vgpr4_vgpr5_vgpr6
                                        ; implicit-def: $vgpr6_vgpr7_vgpr8_vgpr9_vgpr10_vgpr11_vgpr12
	s_cbranch_execz .LBB0_204
; %bb.197:
	v_dual_mov_b32 v116, 0 :: v_dual_mov_b32 v15, 0
	v_dual_mov_b32 v13, 0 :: v_dual_mov_b32 v0, 0
	v_mov_b32_e32 v7, 0
	s_mov_b32 s14, exec_lo
	v_cmpx_eq_u32_e32 2, v64
	s_cbranch_execz .LBB0_203
; %bb.198:
                                        ; implicit-def: $vgpr116
                                        ; implicit-def: $vgpr15
                                        ; implicit-def: $vgpr13
	s_mov_b32 s0, exec_lo
	v_cmpx_ngt_f32_e32 0x423c0000, v115
	s_xor_b32 s2, exec_lo, s0
                                        ; implicit-def: $vgpr0_vgpr1_vgpr2_vgpr3_vgpr4_vgpr5_vgpr6
                                        ; implicit-def: $vgpr6_vgpr7_vgpr8_vgpr9_vgpr10_vgpr11_vgpr12
	s_cbranch_execz .LBB0_200
; %bb.199:
	v_add_f32_e32 v0, 0xbe42ba39, v115
	v_add_f32_e32 v2, 0xc0b0cf9e, v115
	v_mul_f32_e32 v116, 0x3ba77ef2, v14
	s_delay_alu instid0(VALU_DEP_3) | instskip(NEXT) | instid1(VALU_DEP_3)
	v_div_scale_f32 v3, null, v0, v0, 0x3e42ba39
	v_div_scale_f32 v5, null, v2, v2, 0x40b0cf9e
	v_div_scale_f32 v9, vcc_lo, 0x3e42ba39, v0, 0x3e42ba39
	s_delay_alu instid0(VALU_DEP_3) | instskip(NEXT) | instid1(VALU_DEP_2)
	v_rcp_f32_e32 v6, v3
	v_rcp_f32_e32 v8, v5
	v_div_scale_f32 v16, s1, 0x40b0cf9e, v2, 0x40b0cf9e
	s_waitcnt_depctr 0xfff
	v_fma_f32 v11, -v3, v6, 1.0
	v_add_f32_e32 v1, 0xbfe46a42, v115
	v_fma_f32 v13, -v5, v8, 1.0
                                        ; implicit-def: $vgpr115
	s_delay_alu instid0(VALU_DEP_3) | instskip(NEXT) | instid1(VALU_DEP_3)
	v_fmac_f32_e32 v6, v11, v6
	v_div_scale_f32 v4, null, v1, v1, 0x3fe46a42
	v_div_scale_f32 v10, s0, 0x3fe46a42, v1, 0x3fe46a42
	s_delay_alu instid0(VALU_DEP_3) | instskip(NEXT) | instid1(VALU_DEP_3)
	v_mul_f32_e32 v11, v9, v6
	v_rcp_f32_e32 v7, v4
	v_fmac_f32_e32 v8, v13, v8
	s_delay_alu instid0(VALU_DEP_2) | instskip(NEXT) | instid1(VALU_DEP_2)
	v_fma_f32 v15, -v3, v11, v9
	v_mul_f32_e32 v13, v16, v8
	s_delay_alu instid0(VALU_DEP_2)
	v_fmac_f32_e32 v11, v15, v6
	s_waitcnt_depctr 0xfff
	v_fma_f32 v12, -v4, v7, 1.0
	v_mul_f32_e32 v15, 0x3e357c2c, v14
	v_fma_f32 v18, -v5, v13, v16
	v_fma_f32 v3, -v3, v11, v9
	s_delay_alu instid0(VALU_DEP_4) | instskip(NEXT) | instid1(VALU_DEP_3)
	v_fmac_f32_e32 v7, v12, v7
	v_fmac_f32_e32 v13, v18, v8
	s_delay_alu instid0(VALU_DEP_3) | instskip(NEXT) | instid1(VALU_DEP_3)
	v_div_fmas_f32 v3, v3, v6, v11
	v_mul_f32_e32 v12, v10, v7
	s_mov_b32 vcc_lo, s0
	v_fmamk_f32 v6, v14, 0xbe357c2c, v14
	v_fma_f32 v5, -v5, v13, v16
	v_div_fixup_f32 v0, v3, v0, 0x3e42ba39
	v_fma_f32 v17, -v4, v12, v10
	s_delay_alu instid0(VALU_DEP_4) | instskip(NEXT) | instid1(VALU_DEP_2)
	v_fmamk_f32 v14, v14, 0xbba77ef2, v6
	v_fmac_f32_e32 v12, v17, v7
	s_delay_alu instid0(VALU_DEP_1) | instskip(NEXT) | instid1(VALU_DEP_1)
	v_fma_f32 v4, -v4, v12, v10
	v_div_fmas_f32 v4, v4, v7, v12
	s_mov_b32 vcc_lo, s1
	v_div_fmas_f32 v5, v5, v8, v13
	s_delay_alu instid0(VALU_DEP_2) | instskip(NEXT) | instid1(VALU_DEP_2)
	v_div_fixup_f32 v7, v4, v1, 0x3fe46a42
	v_div_fixup_f32 v13, v5, v2, 0x40b0cf9e
.LBB0_200:
	s_and_not1_saveexec_b32 s15, s2
	s_cbranch_execz .LBB0_202
; %bb.201:
	v_mul_f32_e32 v1, 0xbfb8aa3b, v115
	s_mov_b32 s1, 0xc293bec9
	v_cmp_nlt_f32_e64 s2, 0x42ce8ed0, v115
	s_mov_b32 s0, 0xc0ec7fab
	s_mov_b32 s16, 0x42760770
	v_rndne_f32_e32 v6, v1
	v_add_f32_e32 v0, 0xbe42ba39, v115
	v_fma_f32 v7, 0xbfb8aa3b, v115, -v1
	s_delay_alu instid0(VALU_DEP_3) | instskip(NEXT) | instid1(VALU_DEP_3)
	v_sub_f32_e32 v1, v1, v6
	v_div_scale_f32 v2, null, v0, v0, 0x3e42ba39
	v_div_scale_f32 v13, vcc_lo, 0x3e42ba39, v0, 0x3e42ba39
	v_cvt_i32_f32_e32 v6, v6
	s_delay_alu instid0(VALU_DEP_3) | instskip(SKIP_2) | instid1(VALU_DEP_1)
	v_rcp_f32_e32 v5, v2
	s_waitcnt_depctr 0xfff
	v_fma_f32 v12, -v2, v5, 1.0
	v_dual_add_f32 v4, 0xc0b0cf9e, v115 :: v_dual_fmac_f32 v5, v12, v5
	v_fmaak_f32 v10, s1, v115, 0x4543fb32
	s_delay_alu instid0(VALU_DEP_2) | instskip(SKIP_1) | instid1(VALU_DEP_4)
	v_div_scale_f32 v18, s1, 0x40b0cf9e, v4, 0x40b0cf9e
	v_add_f32_e32 v3, 0xbfe46a42, v115
	v_mul_f32_e32 v17, v13, v5
	v_div_scale_f32 v15, null, v4, v4, 0x40b0cf9e
	v_fmaak_f32 v10, v115, v10, 0xc7171e49
	s_delay_alu instid0(VALU_DEP_4) | instskip(NEXT) | instid1(VALU_DEP_3)
	v_div_scale_f32 v8, null, v3, v3, 0x3fe46a42
	v_rcp_f32_e32 v12, v15
	v_fma_f32 v19, -v2, v17, v13
	s_delay_alu instid0(VALU_DEP_2) | instskip(SKIP_2) | instid1(VALU_DEP_1)
	v_rcp_f32_e32 v11, v8
	s_waitcnt_depctr 0xfff
	v_fma_f32 v16, -v8, v11, 1.0
	v_fmac_f32_e32 v11, v16, v11
	v_fmamk_f32 v7, v115, 0xb2a5705f, v7
	v_fma_f32 v16, -v15, v12, 1.0
	s_delay_alu instid0(VALU_DEP_1) | instskip(NEXT) | instid1(VALU_DEP_1)
	v_dual_add_f32 v1, v1, v7 :: v_dual_fmac_f32 v12, v16, v12
	v_exp_f32_e32 v1, v1
	s_delay_alu instid0(VALU_DEP_1) | instskip(SKIP_2) | instid1(VALU_DEP_1)
	v_mul_f32_e32 v16, v18, v12
	s_waitcnt_depctr 0xfff
	v_ldexp_f32 v1, v1, v6
	v_cndmask_b32_e64 v1, 0, v1, s2
	s_mov_b32 s2, 0x3e1be9c5
	v_fmac_f32_e32 v17, v19, v5
	s_delay_alu instid0(VALU_DEP_1) | instskip(NEXT) | instid1(VALU_DEP_1)
	v_fma_f32 v2, -v2, v17, v13
	v_div_fmas_f32 v2, v2, v5, v17
	v_fma_f32 v5, -v15, v16, v18
	v_fmaak_f32 v9, s0, v115, 0x43a0a8c0
	v_div_scale_f32 v7, s0, 0x3fe46a42, v3, 0x3fe46a42
	s_delay_alu instid0(VALU_DEP_4) | instskip(NEXT) | instid1(VALU_DEP_4)
	v_div_fixup_f32 v0, v2, v0, 0x3e42ba39
	v_fmac_f32_e32 v16, v5, v12
	v_fmaak_f32 v2, s2, v115, 0xc104e7e9
	v_cmp_ngt_f32_e32 vcc_lo, 0xc2b17218, v115
	s_mov_b32 s2, 0xc383e013
	s_delay_alu instid0(VALU_DEP_2) | instskip(SKIP_2) | instid1(VALU_DEP_2)
	v_fmaak_f32 v2, v115, v2, 0x4340fa35
	v_dual_mul_f32 v6, v7, v11 :: v_dual_cndmask_b32 v1, 0x7f800000, v1
	s_mov_b32 vcc_lo, s0
	v_fmaak_f32 v2, v115, v2, 0xc4d1bc23
	s_delay_alu instid0(VALU_DEP_2) | instskip(NEXT) | instid1(VALU_DEP_2)
	v_fma_f32 v13, -v8, v6, v7
	v_dual_fmaak_f32 v9, v115, v9, 0xc579a564 :: v_dual_mul_f32 v2, v1, v2
	s_delay_alu instid0(VALU_DEP_2) | instskip(NEXT) | instid1(VALU_DEP_2)
	v_fmac_f32_e32 v6, v13, v11
	v_dual_fmaak_f32 v13, s16, v115, 0xc5367ce7 :: v_dual_fmac_f32 v0, v1, v9
	s_delay_alu instid0(VALU_DEP_2) | instskip(NEXT) | instid1(VALU_DEP_2)
	v_fma_f32 v7, -v8, v6, v7
	v_fmaak_f32 v5, v115, v13, 0x4714bf6e
	v_fmaak_f32 v8, s2, v115, 0x462324de
	s_delay_alu instid0(VALU_DEP_3) | instskip(NEXT) | instid1(VALU_DEP_3)
	v_div_fmas_f32 v6, v7, v11, v6
	v_mul_f32_e32 v5, v1, v5
	v_fma_f32 v7, -v15, v16, v18
	s_mov_b32 vcc_lo, s1
	s_delay_alu instid0(VALU_DEP_2) | instskip(NEXT) | instid1(VALU_DEP_2)
	v_fmamk_f32 v15, v14, 0x3e357c2c, v5
	v_div_fmas_f32 v11, v7, v12, v16
	v_div_fixup_f32 v7, v6, v3, 0x3fe46a42
	v_fmaak_f32 v3, v115, v8, 0xc7fa2f4a
	v_fmamk_f32 v116, v14, 0x3ba77ef2, v2
	v_sub_f32_e32 v2, v14, v15
	v_div_fixup_f32 v13, v11, v4, 0x40b0cf9e
	s_delay_alu instid0(VALU_DEP_2) | instskip(NEXT) | instid1(VALU_DEP_2)
	v_dual_fmac_f32 v7, v1, v10 :: v_dual_sub_f32 v14, v2, v116
	v_fmac_f32_e32 v13, v1, v3
.LBB0_202:
	s_or_b32 exec_lo, exec_lo, s15
.LBB0_203:
	s_delay_alu instid0(SALU_CYCLE_1)
	s_or_b32 exec_lo, exec_lo, s14
                                        ; implicit-def: $vgpr115
.LBB0_204:
	s_and_not1_saveexec_b32 s2, s13
	s_cbranch_execz .LBB0_210
; %bb.205:
	v_mul_f32_e32 v15, 0x3dbbe852, v14
	s_mov_b32 s1, exec_lo
                                        ; implicit-def: $sgpr0
                                        ; implicit-def: $vgpr7
	v_cmpx_ngt_f32_e32 0x42200000, v115
	s_xor_b32 s1, exec_lo, s1
                                        ; implicit-def: $vgpr0_vgpr1_vgpr2_vgpr3_vgpr4_vgpr5_vgpr6
	s_cbranch_execz .LBB0_207
; %bb.206:
	v_add_f32_e32 v1, 0xc02e6238, v115
	v_fmamk_f32 v14, v14, 0xbdbbe852, v14
	s_delay_alu instid0(VALU_DEP_2) | instskip(NEXT) | instid1(VALU_DEP_1)
	v_div_scale_f32 v3, null, v1, v1, 0x402e6238
	v_rcp_f32_e32 v5, v3
	s_waitcnt_depctr 0xfff
	v_fma_f32 v7, -v3, v5, 1.0
	v_add_f32_e32 v0, 0xbe8cee3d, v115
                                        ; implicit-def: $vgpr115
	s_delay_alu instid0(VALU_DEP_2) | instskip(NEXT) | instid1(VALU_DEP_2)
	v_fmac_f32_e32 v5, v7, v5
	v_div_scale_f32 v2, null, v0, v0, 0x3e8cee3d
	v_div_scale_f32 v8, vcc_lo, 0x3e8cee3d, v0, 0x3e8cee3d
	s_delay_alu instid0(VALU_DEP_2) | instskip(SKIP_2) | instid1(VALU_DEP_1)
	v_rcp_f32_e32 v4, v2
	s_waitcnt_depctr 0xfff
	v_fma_f32 v6, -v2, v4, 1.0
	v_fmac_f32_e32 v4, v6, v4
	v_div_scale_f32 v6, s0, 0x402e6238, v1, 0x402e6238
	s_delay_alu instid0(VALU_DEP_2) | instskip(NEXT) | instid1(VALU_DEP_2)
	v_mul_f32_e32 v7, v8, v4
	v_mul_f32_e32 v9, v6, v5
	s_delay_alu instid0(VALU_DEP_2) | instskip(NEXT) | instid1(VALU_DEP_2)
	v_fma_f32 v10, -v2, v7, v8
	v_fma_f32 v11, -v3, v9, v6
	s_delay_alu instid0(VALU_DEP_2) | instskip(NEXT) | instid1(VALU_DEP_2)
	v_fmac_f32_e32 v7, v10, v4
	v_fmac_f32_e32 v9, v11, v5
	s_delay_alu instid0(VALU_DEP_2) | instskip(NEXT) | instid1(VALU_DEP_2)
	v_fma_f32 v2, -v2, v7, v8
	v_fma_f32 v3, -v3, v9, v6
	s_delay_alu instid0(VALU_DEP_2) | instskip(SKIP_2) | instid1(VALU_DEP_2)
	v_div_fmas_f32 v2, v2, v4, v7
	s_mov_b32 vcc_lo, s0
	s_mov_b32 s0, 0
	v_div_fmas_f32 v3, v3, v5, v9
	s_delay_alu instid0(VALU_DEP_2) | instskip(NEXT) | instid1(VALU_DEP_2)
	v_div_fixup_f32 v0, v2, v0, 0x3e8cee3d
	v_div_fixup_f32 v7, v3, v1, 0x402e6238
.LBB0_207:
	s_or_saveexec_b32 s13, s1
	v_mov_b32_e32 v116, s0
	s_xor_b32 exec_lo, exec_lo, s13
	s_cbranch_execz .LBB0_209
; %bb.208:
	v_dual_mul_f32 v3, 0xbfb8aa3b, v115 :: v_dual_mov_b32 v116, 0
	v_add_f32_e32 v1, 0xc02e6238, v115
	v_cmp_nlt_f32_e64 s1, 0x42ce8ed0, v115
	s_mov_b32 s16, 0x408efe8f
	s_delay_alu instid0(VALU_DEP_3) | instskip(SKIP_3) | instid1(VALU_DEP_4)
	v_rndne_f32_e32 v6, v3
	v_fma_f32 v7, 0xbfb8aa3b, v115, -v3
	v_add_f32_e32 v0, 0xbe8cee3d, v115
	v_div_scale_f32 v4, null, v1, v1, 0x402e6238
	v_sub_f32_e32 v3, v3, v6
	s_delay_alu instid0(VALU_DEP_4) | instskip(NEXT) | instid1(VALU_DEP_4)
	v_fmamk_f32 v7, v115, 0xb2a5705f, v7
	v_div_scale_f32 v2, null, v0, v0, 0x3e8cee3d
	s_delay_alu instid0(VALU_DEP_4) | instskip(SKIP_1) | instid1(VALU_DEP_3)
	v_rcp_f32_e32 v8, v4
	v_cvt_i32_f32_e32 v6, v6
	v_add_f32_e32 v3, v3, v7
	s_delay_alu instid0(VALU_DEP_3) | instskip(SKIP_2) | instid1(VALU_DEP_2)
	v_rcp_f32_e32 v5, v2
	v_div_scale_f32 v10, vcc_lo, 0x3e8cee3d, v0, 0x3e8cee3d
	s_mov_b32 s15, 0xc1149fe8
	v_exp_f32_e32 v3, v3
	s_mov_b32 s14, 0xbf6102b1
	s_delay_alu instid0(TRANS32_DEP_3) | instskip(SKIP_4) | instid1(VALU_DEP_3)
	v_fma_f32 v7, -v4, v8, 1.0
	s_waitcnt_depctr 0xfff
	v_fma_f32 v9, -v2, v5, 1.0
	v_fmac_f32_e32 v8, v7, v8
	v_ldexp_f32 v3, v3, v6
	v_fmac_f32_e32 v5, v9, v5
	v_div_scale_f32 v9, s0, 0x402e6238, v1, 0x402e6238
	s_delay_alu instid0(VALU_DEP_3) | instskip(SKIP_1) | instid1(VALU_DEP_1)
	v_cndmask_b32_e64 v3, 0, v3, s1
	v_cmp_ngt_f32_e64 s1, 0xc2b17218, v115
	v_cndmask_b32_e64 v3, 0x7f800000, v3, s1
	s_delay_alu instid0(VALU_DEP_4) | instskip(NEXT) | instid1(VALU_DEP_1)
	v_mul_f32_e32 v11, v9, v8
	v_fma_f32 v6, -v4, v11, v9
	s_delay_alu instid0(VALU_DEP_1) | instskip(SKIP_1) | instid1(VALU_DEP_2)
	v_dual_fmac_f32 v11, v6, v8 :: v_dual_fmaak_f32 v6, s16, v115, 0xc29bd9a2
	v_mul_f32_e32 v7, v10, v5
	v_fma_f32 v4, -v4, v11, v9
	s_delay_alu instid0(VALU_DEP_3) | instskip(NEXT) | instid1(VALU_DEP_3)
	v_fmac_f32_e32 v15, v3, v6
	v_fma_f32 v12, -v2, v7, v10
	s_delay_alu instid0(VALU_DEP_1) | instskip(NEXT) | instid1(VALU_DEP_1)
	v_dual_sub_f32 v14, v14, v15 :: v_dual_fmac_f32 v7, v12, v5
	v_fma_f32 v2, -v2, v7, v10
	s_delay_alu instid0(VALU_DEP_1)
	v_div_fmas_f32 v2, v2, v5, v7
	s_mov_b32 vcc_lo, s0
	v_fmaak_f32 v5, s14, v115, 0x412eca38
	v_div_fmas_f32 v4, v4, v8, v11
	v_fmaak_f32 v8, s15, v115, 0x42a220e4
	v_div_fixup_f32 v0, v2, v0, 0x3e8cee3d
	s_delay_alu instid0(VALU_DEP_3) | instskip(NEXT) | instid1(VALU_DEP_2)
	v_div_fixup_f32 v7, v4, v1, 0x402e6238
	v_fmac_f32_e32 v0, v3, v5
	s_delay_alu instid0(VALU_DEP_2)
	v_fmac_f32_e32 v7, v3, v8
.LBB0_209:
	s_or_b32 exec_lo, exec_lo, s13
	s_delay_alu instid0(VALU_DEP_1)
	v_mov_b32_e32 v13, v116
.LBB0_210:
	s_or_b32 exec_lo, exec_lo, s2
                                        ; implicit-def: $vgpr115
.LBB0_211:
	s_and_not1_saveexec_b32 s0, s12
	s_cbranch_execz .LBB0_215
; %bb.212:
	v_mov_b32_e32 v116, 0
	v_mov_b32_e32 v0, 0
	s_mov_b32 s1, exec_lo
	v_cmpx_eq_u32_e32 0, v64
	s_cbranch_execz .LBB0_214
; %bb.213:
	v_add_f32_e32 v0, -0.5, v115
	s_delay_alu instid0(VALU_DEP_1) | instskip(NEXT) | instid1(VALU_DEP_1)
	v_div_scale_f32 v1, null, v0, v0, 0.5
	v_rcp_f32_e32 v2, v1
	s_waitcnt_depctr 0xfff
	v_fma_f32 v3, -v1, v2, 1.0
	s_delay_alu instid0(VALU_DEP_1) | instskip(SKIP_1) | instid1(VALU_DEP_1)
	v_fmac_f32_e32 v2, v3, v2
	v_div_scale_f32 v3, vcc_lo, 0.5, v0, 0.5
	v_mul_f32_e32 v4, v3, v2
	s_delay_alu instid0(VALU_DEP_1) | instskip(NEXT) | instid1(VALU_DEP_1)
	v_fma_f32 v5, -v1, v4, v3
	v_fmac_f32_e32 v4, v5, v2
	s_delay_alu instid0(VALU_DEP_1) | instskip(NEXT) | instid1(VALU_DEP_1)
	v_fma_f32 v1, -v1, v4, v3
	v_div_fmas_f32 v1, v1, v2, v4
	s_delay_alu instid0(VALU_DEP_1)
	v_div_fixup_f32 v0, v1, v0, 0.5
.LBB0_214:
	s_or_b32 exec_lo, exec_lo, s1
	v_mov_b32_e32 v15, 0
	v_mov_b32_e32 v13, 0
	;; [unrolled: 1-line block ×3, first 2 shown]
.LBB0_215:
	s_or_b32 exec_lo, exec_lo, s0
                                        ; implicit-def: $vgpr115
.LBB0_216:
	s_and_not1_saveexec_b32 s12, s3
	s_cbranch_execz .LBB0_234
; %bb.217:
	v_div_scale_f32 v0, null, v115, v115, 0x3e48f136
	v_div_scale_f32 v3, vcc_lo, 0x3e48f136, v115, 0x3e48f136
	v_add_f32_e32 v18, v115, v115
	s_delay_alu instid0(VALU_DEP_3) | instskip(SKIP_2) | instid1(VALU_DEP_1)
	v_rcp_f32_e32 v1, v0
                                        ; implicit-def: $vgpr116
                                        ; implicit-def: $vgpr15
                                        ; implicit-def: $vgpr13
	s_waitcnt_depctr 0xfff
	v_fma_f32 v2, -v0, v1, 1.0
	v_fmac_f32_e32 v1, v2, v1
	s_delay_alu instid0(VALU_DEP_1) | instskip(NEXT) | instid1(VALU_DEP_1)
	v_mul_f32_e32 v2, v3, v1
	v_fma_f32 v4, -v0, v2, v3
	s_delay_alu instid0(VALU_DEP_1) | instskip(NEXT) | instid1(VALU_DEP_1)
	v_fmac_f32_e32 v2, v4, v1
	v_fma_f32 v0, -v0, v2, v3
	s_delay_alu instid0(VALU_DEP_1) | instskip(SKIP_1) | instid1(VALU_DEP_2)
	v_div_fmas_f32 v0, v0, v1, v2
	v_div_scale_f32 v2, null, v115, v115, 0x3f490fdb
	v_div_fixup_f32 v0, v0, v115, 0x3e48f136
	s_delay_alu instid0(VALU_DEP_2) | instskip(NEXT) | instid1(VALU_DEP_1)
	v_rcp_f32_e32 v4, v2
	v_add_f32_e32 v0, 0xbefe708c, v0
	s_delay_alu instid0(VALU_DEP_1) | instskip(SKIP_4) | instid1(VALU_DEP_2)
	v_div_scale_f32 v1, null, v115, v115, v0
	s_waitcnt_depctr 0xfff
	v_fma_f32 v6, -v2, v4, 1.0
	v_div_scale_f32 v7, vcc_lo, v0, v115, v0
	v_rcp_f32_e32 v3, v1
	v_fmac_f32_e32 v4, v6, v4
	s_waitcnt_depctr 0xfff
	v_fma_f32 v5, -v1, v3, 1.0
	s_delay_alu instid0(VALU_DEP_1) | instskip(SKIP_1) | instid1(VALU_DEP_2)
	v_fmac_f32_e32 v3, v5, v3
	v_div_scale_f32 v5, s0, 0x3f490fdb, v115, 0x3f490fdb
	v_mul_f32_e32 v6, v7, v3
	s_delay_alu instid0(VALU_DEP_2) | instskip(NEXT) | instid1(VALU_DEP_2)
	v_mul_f32_e32 v8, v5, v4
	v_fma_f32 v9, -v1, v6, v7
	s_delay_alu instid0(VALU_DEP_2) | instskip(NEXT) | instid1(VALU_DEP_2)
	v_fma_f32 v10, -v2, v8, v5
	v_fmac_f32_e32 v6, v9, v3
	s_delay_alu instid0(VALU_DEP_2) | instskip(NEXT) | instid1(VALU_DEP_2)
	v_fmac_f32_e32 v8, v10, v4
	v_fma_f32 v1, -v1, v6, v7
	s_delay_alu instid0(VALU_DEP_2) | instskip(NEXT) | instid1(VALU_DEP_2)
	v_fma_f32 v2, -v2, v8, v5
	v_div_fmas_f32 v1, v1, v3, v6
	s_mov_b32 vcc_lo, s0
	s_delay_alu instid0(VALU_DEP_2) | instskip(NEXT) | instid1(VALU_DEP_2)
	v_div_fmas_f32 v2, v2, v4, v8
	v_div_fixup_f32 v0, v1, v115, v0
	s_delay_alu instid0(VALU_DEP_2) | instskip(NEXT) | instid1(VALU_DEP_2)
	v_div_fixup_f32 v2, v2, v115, 0x3f490fdb
	v_add_f32_e32 v0, 0xb87c50a3, v0
	s_delay_alu instid0(VALU_DEP_2) | instskip(SKIP_1) | instid1(VALU_DEP_2)
	v_mul_f32_e32 v3, 0x4f800000, v2
	v_cmp_gt_f32_e32 vcc_lo, 0xf800000, v2
	v_cndmask_b32_e32 v2, v2, v3, vcc_lo
	v_mul_f32_e32 v3, 0xbfb8aa3b, v115
	s_delay_alu instid0(VALU_DEP_2) | instskip(NEXT) | instid1(VALU_DEP_1)
	v_sqrt_f32_e32 v4, v2
	v_rndne_f32_e32 v5, v3
	v_fma_f32 v6, 0xbfb8aa3b, v115, -v3
	s_delay_alu instid0(VALU_DEP_2) | instskip(NEXT) | instid1(VALU_DEP_2)
	v_sub_f32_e32 v3, v3, v5
	v_fmamk_f32 v6, v115, 0xb2a5705f, v6
	v_cvt_i32_f32_e32 v5, v5
	s_waitcnt_depctr 0xfff
	v_add_nc_u32_e32 v7, -1, v4
	v_dual_add_f32 v3, v3, v6 :: v_dual_add_nc_u32 v6, 1, v4
	s_delay_alu instid0(VALU_DEP_2) | instskip(NEXT) | instid1(VALU_DEP_2)
	v_fma_f32 v8, -v7, v4, v2
	v_exp_f32_e32 v3, v3
	s_delay_alu instid0(VALU_DEP_2) | instskip(NEXT) | instid1(VALU_DEP_2)
	v_fma_f32 v9, -v6, v4, v2
	v_cmp_ge_f32_e64 s0, 0, v8
	s_delay_alu instid0(VALU_DEP_1) | instskip(NEXT) | instid1(VALU_DEP_3)
	v_cndmask_b32_e64 v4, v4, v7, s0
	v_cmp_lt_f32_e64 s0, 0, v9
	s_waitcnt_depctr 0xfff
	v_ldexp_f32 v3, v3, v5
	v_cndmask_b32_e64 v4, v4, v6, s0
	v_cmp_nlt_f32_e64 s0, 0x42ce8ed0, v115
	s_delay_alu instid0(VALU_DEP_2) | instskip(NEXT) | instid1(VALU_DEP_2)
	v_mul_f32_e32 v5, 0x37800000, v4
	v_cndmask_b32_e64 v3, 0, v3, s0
	s_mov_b32 s0, exec_lo
	s_delay_alu instid0(VALU_DEP_2) | instskip(SKIP_1) | instid1(VALU_DEP_3)
	v_cndmask_b32_e32 v1, v4, v5, vcc_lo
	v_cmp_ngt_f32_e32 vcc_lo, 0xc2b17218, v115
	v_cndmask_b32_e32 v17, 0x7f800000, v3, vcc_lo
	v_cmp_class_f32_e64 vcc_lo, v2, 0x260
	s_delay_alu instid0(VALU_DEP_4) | instskip(NEXT) | instid1(VALU_DEP_1)
	v_cndmask_b32_e32 v14, v1, v2, vcc_lo
	v_fmac_f32_e32 v14, v17, v0
	s_delay_alu instid0(VALU_DEP_1) | instskip(NEXT) | instid1(VALU_DEP_1)
	v_sub_f32_e32 v0, v14, v17
	v_div_scale_f32 v1, null, v18, v18, v0
	v_div_scale_f32 v4, vcc_lo, v0, v18, v0
	s_delay_alu instid0(VALU_DEP_2) | instskip(SKIP_2) | instid1(VALU_DEP_1)
	v_rcp_f32_e32 v2, v1
	s_waitcnt_depctr 0xfff
	v_fma_f32 v3, -v1, v2, 1.0
	v_fmac_f32_e32 v2, v3, v2
	s_delay_alu instid0(VALU_DEP_1) | instskip(NEXT) | instid1(VALU_DEP_1)
	v_mul_f32_e32 v3, v4, v2
	v_fma_f32 v5, -v1, v3, v4
	s_delay_alu instid0(VALU_DEP_1) | instskip(NEXT) | instid1(VALU_DEP_1)
	v_fmac_f32_e32 v3, v5, v2
	v_fma_f32 v1, -v1, v3, v4
	s_delay_alu instid0(VALU_DEP_1) | instskip(NEXT) | instid1(VALU_DEP_1)
	v_div_fmas_f32 v1, v1, v2, v3
	v_div_fixup_f32 v16, v1, v18, v0
	v_cmpx_lt_i32_e32 0, v64
	s_xor_b32 s13, exec_lo, s0
                                        ; implicit-def: $vgpr0_vgpr1_vgpr2_vgpr3_vgpr4_vgpr5_vgpr6
                                        ; implicit-def: $vgpr6_vgpr7_vgpr8_vgpr9_vgpr10_vgpr11_vgpr12
	s_cbranch_execz .LBB0_229
; %bb.218:
                                        ; implicit-def: $vgpr116
                                        ; implicit-def: $vgpr15
                                        ; implicit-def: $vgpr13
	s_mov_b32 s0, exec_lo
	v_cmpx_lt_i32_e32 1, v64
	s_xor_b32 s14, exec_lo, s0
                                        ; implicit-def: $vgpr0_vgpr1_vgpr2_vgpr3_vgpr4_vgpr5_vgpr6
                                        ; implicit-def: $vgpr6_vgpr7_vgpr8_vgpr9_vgpr10_vgpr11_vgpr12
	s_cbranch_execz .LBB0_226
; %bb.219:
	v_dual_mov_b32 v116, 0 :: v_dual_mov_b32 v15, 0
	v_dual_mov_b32 v13, 0 :: v_dual_mov_b32 v0, 0
	v_mov_b32_e32 v7, 0
	s_mov_b32 s15, exec_lo
	v_cmpx_eq_u32_e32 2, v64
	s_cbranch_execz .LBB0_225
; %bb.220:
	v_add_f32_e32 v9, 0xbe42ba39, v115
	v_add_f32_e32 v8, 0xbfe46a42, v115
                                        ; implicit-def: $vgpr7
                                        ; implicit-def: $vgpr10
	s_mov_b32 s0, exec_lo
	v_cmpx_ngt_f32_e32 0x41a00000, v115
	s_xor_b32 s16, exec_lo, s0
                                        ; implicit-def: $vgpr0_vgpr1_vgpr2_vgpr3_vgpr4_vgpr5_vgpr6
	s_cbranch_execz .LBB0_222
; %bb.221:
	v_div_scale_f32 v0, null, v115, v115, 0xc4251610
	v_div_scale_f32 v1, null, v9, v9, 0x3e42ba39
	;; [unrolled: 1-line block ×3, first 2 shown]
	s_delay_alu instid0(VALU_DEP_3) | instskip(NEXT) | instid1(VALU_DEP_2)
	v_rcp_f32_e32 v2, v0
	v_rcp_f32_e32 v4, v1
	v_div_scale_f32 v13, null, v115, v115, 0xc663b5e1
	s_delay_alu instid0(VALU_DEP_2) | instskip(SKIP_3) | instid1(TRANS32_DEP_3)
	v_rcp_f32_e32 v10, v5
	v_div_scale_f32 v6, s0, 0x3e42ba39, v9, 0x3e42ba39
	v_div_scale_f32 v3, vcc_lo, 0xc4251610, v115, 0xc4251610
	s_mov_b32 s2, 0xba026eca
	v_fma_f32 v7, -v0, v2, 1.0
	s_waitcnt_depctr 0xfff
	v_fma_f32 v12, -v1, v4, 1.0
	v_div_scale_f32 v11, s1, 0xc5c528bb, v115, 0xc5c528bb
	v_fma_f32 v15, -v5, v10, 1.0
	s_mov_b32 s17, 0xbb92df54
	s_delay_alu instid0(VALU_DEP_1) | instskip(SKIP_4) | instid1(VALU_DEP_3)
	v_fmac_f32_e32 v10, v15, v10
	v_rcp_f32_e32 v15, v13
	v_fmac_f32_e32 v4, v12, v4
	v_fmac_f32_e32 v2, v7, v2
	v_div_scale_f32 v7, null, v8, v8, 0x3fe46a42
	v_mul_f32_e32 v21, v6, v4
	s_delay_alu instid0(VALU_DEP_2) | instskip(NEXT) | instid1(VALU_DEP_1)
	v_rcp_f32_e32 v19, v7
	v_fma_f32 v23, -v1, v21, v6
	s_delay_alu instid0(VALU_DEP_1) | instskip(NEXT) | instid1(TRANS32_DEP_2)
	v_dual_fmaak_f32 v20, s2, v115, 0xbd4d2e47 :: v_dual_fmac_f32 v21, v23, v4
	v_fma_f32 v23, -v13, v15, 1.0
	s_waitcnt_depctr 0xfff
	v_fma_f32 v24, -v7, v19, 1.0
	v_mul_f32_e32 v12, v3, v2
	v_fma_f32 v1, -v1, v21, v6
	v_fmac_f32_e32 v15, v23, v15
	s_delay_alu instid0(VALU_DEP_4) | instskip(NEXT) | instid1(VALU_DEP_4)
	v_fmac_f32_e32 v19, v24, v19
	v_fma_f32 v22, -v0, v12, v3
	s_delay_alu instid0(VALU_DEP_1) | instskip(SKIP_1) | instid1(VALU_DEP_2)
	v_fmac_f32_e32 v12, v22, v2
	v_mul_f32_e32 v22, v11, v10
	v_fma_f32 v0, -v0, v12, v3
	s_delay_alu instid0(VALU_DEP_2) | instskip(NEXT) | instid1(VALU_DEP_2)
	v_fma_f32 v3, -v5, v22, v11
	v_div_fmas_f32 v0, v0, v2, v12
	s_delay_alu instid0(VALU_DEP_2) | instskip(SKIP_3) | instid1(VALU_DEP_3)
	v_fmac_f32_e32 v22, v3, v10
	v_div_scale_f32 v2, s2, 0x3fe46a42, v8, 0x3fe46a42
	s_mov_b32 vcc_lo, s0
	v_div_scale_f32 v12, s3, 0xc663b5e1, v115, 0xc663b5e1
	v_fma_f32 v5, -v5, v22, v11
	v_div_fmas_f32 v1, v1, v4, v21
	s_mov_b32 vcc_lo, s1
	v_dual_mul_f32 v3, v2, v19 :: v_dual_fmaak_f32 v20, v115, v20, 0x3fa7ce91
	v_mul_f32_e32 v23, v12, v15
	v_div_fmas_f32 v5, v5, v10, v22
	s_mov_b32 s0, 0xbc62b400
	s_mov_b32 vcc_lo, s2
	v_div_fixup_f32 v0, v0, v115, 0xc4251610
	v_fma_f32 v11, -v13, v23, v12
	v_div_fixup_f32 v5, v5, v115, 0xc5c528bb
	v_fmaak_f32 v6, s17, v115, 0xbf047292
	s_delay_alu instid0(VALU_DEP_3) | instskip(NEXT) | instid1(VALU_DEP_2)
	v_fmac_f32_e32 v23, v11, v15
	v_fmaak_f32 v4, v115, v6, 0x4135e7dc
	v_fma_f32 v6, -v7, v3, v2
	s_delay_alu instid0(VALU_DEP_1) | instskip(NEXT) | instid1(VALU_DEP_1)
	v_dual_fmaak_f32 v4, v115, v4, 0xc3256d28 :: v_dual_fmac_f32 v3, v6, v19
	v_dual_fmaak_f32 v6, s0, v115, 0xbfe2ef83 :: v_dual_fmac_f32 v5, v115, v4
	s_delay_alu instid0(VALU_DEP_2) | instskip(SKIP_1) | instid1(VALU_DEP_2)
	v_fma_f32 v2, -v7, v3, v2
	v_fma_f32 v7, -v13, v23, v12
	v_div_fmas_f32 v2, v2, v19, v3
	s_mov_b32 vcc_lo, s3
	v_fmaak_f32 v3, v115, v6, 0x418ae947
	s_delay_alu instid0(VALU_DEP_3) | instskip(NEXT) | instid1(VALU_DEP_3)
	v_div_fmas_f32 v6, v7, v15, v23
	v_div_fixup_f32 v7, v2, v8, 0x3fe46a42
	v_fmaak_f32 v20, v115, v20, 0xc196ab4c
                                        ; implicit-def: $vgpr8
	s_delay_alu instid0(VALU_DEP_3) | instskip(NEXT) | instid1(VALU_DEP_2)
	v_div_fixup_f32 v4, v6, v115, 0xc663b5e1
	v_fmac_f32_e32 v0, v115, v20
	s_delay_alu instid0(VALU_DEP_1) | instskip(SKIP_3) | instid1(VALU_DEP_3)
	v_add_f32_e32 v6, 0x4324ee74, v0
	v_div_fixup_f32 v0, v1, v9, 0x3e42ba39
	v_fmaak_f32 v3, v115, v3, 0xc3b2cebc
	v_add_f32_e32 v1, 0x44be4a2a, v5
                                        ; implicit-def: $vgpr9
	v_fmac_f32_e32 v0, v17, v6
	s_delay_alu instid0(VALU_DEP_2) | instskip(NEXT) | instid1(VALU_DEP_1)
	v_dual_fmac_f32 v4, v115, v3 :: v_dual_fmac_f32 v7, v17, v1
	v_add_f32_e32 v10, 0x4528a517, v4
.LBB0_222:
	s_and_not1_saveexec_b32 s2, s16
	s_cbranch_execz .LBB0_224
; %bb.223:
	v_div_scale_f32 v0, null, v115, v115, 0xc69a624f
	v_div_scale_f32 v3, vcc_lo, 0xc69a624f, v115, 0xc69a624f
	v_div_scale_f32 v10, s1, 0xca32054d, v115, 0xca32054d
	s_delay_alu instid0(VALU_DEP_3) | instskip(SKIP_3) | instid1(VALU_DEP_1)
	v_rcp_f32_e32 v1, v0
	v_div_scale_f32 v7, s0, 0x3e42ba39, v9, 0x3e42ba39
	s_waitcnt_depctr 0xfff
	v_fma_f32 v2, -v0, v1, 1.0
	v_fmac_f32_e32 v1, v2, v1
	s_delay_alu instid0(VALU_DEP_1) | instskip(NEXT) | instid1(VALU_DEP_1)
	v_mul_f32_e32 v2, v3, v1
	v_fma_f32 v4, -v0, v2, v3
	s_delay_alu instid0(VALU_DEP_1) | instskip(NEXT) | instid1(VALU_DEP_1)
	v_fmac_f32_e32 v2, v4, v1
	v_fma_f32 v0, -v0, v2, v3
	v_div_scale_f32 v3, null, v115, v115, 0xca32054d
	s_delay_alu instid0(VALU_DEP_2) | instskip(SKIP_1) | instid1(VALU_DEP_3)
	v_div_fmas_f32 v0, v0, v1, v2
	v_div_scale_f32 v1, null, v9, v9, 0x3e42ba39
	v_rcp_f32_e32 v6, v3
	s_delay_alu instid0(VALU_DEP_2) | instskip(NEXT) | instid1(VALU_DEP_2)
	v_div_fixup_f32 v0, v0, v115, 0xc69a624f
	v_rcp_f32_e32 v5, v1
	s_delay_alu instid0(VALU_DEP_1)
	v_add_f32_e32 v0, 0x461981a8, v0
	s_waitcnt_depctr 0xfff
	v_fma_f32 v13, -v3, v6, 1.0
	v_div_scale_f32 v2, null, v115, v115, v0
	v_fma_f32 v12, -v1, v5, 1.0
	v_div_scale_f32 v15, vcc_lo, v0, v115, v0
	s_delay_alu instid0(VALU_DEP_3) | instskip(NEXT) | instid1(VALU_DEP_2)
	v_rcp_f32_e32 v4, v2
	v_fmac_f32_e32 v5, v12, v5
	s_waitcnt_depctr 0xfff
	v_fma_f32 v11, -v2, v4, 1.0
	s_delay_alu instid0(VALU_DEP_1) | instskip(NEXT) | instid1(VALU_DEP_1)
	v_fmac_f32_e32 v4, v11, v4
	v_mul_f32_e32 v11, v15, v4
	s_delay_alu instid0(VALU_DEP_1) | instskip(NEXT) | instid1(VALU_DEP_1)
	v_fma_f32 v19, -v2, v11, v15
	v_dual_fmac_f32 v6, v13, v6 :: v_dual_fmac_f32 v11, v19, v4
	s_delay_alu instid0(VALU_DEP_1) | instskip(NEXT) | instid1(VALU_DEP_2)
	v_mul_f32_e32 v13, v10, v6
	v_fma_f32 v2, -v2, v11, v15
	s_delay_alu instid0(VALU_DEP_2) | instskip(SKIP_1) | instid1(VALU_DEP_3)
	v_fma_f32 v21, -v3, v13, v10
	v_mul_f32_e32 v12, v7, v5
	v_div_fmas_f32 v2, v2, v4, v11
	s_delay_alu instid0(VALU_DEP_3) | instskip(NEXT) | instid1(VALU_DEP_3)
	v_fmac_f32_e32 v13, v21, v6
	v_fma_f32 v20, -v1, v12, v7
	s_mov_b32 vcc_lo, s0
	s_delay_alu instid0(VALU_DEP_3) | instskip(NEXT) | instid1(VALU_DEP_3)
	v_div_fixup_f32 v0, v2, v115, v0
	v_fma_f32 v3, -v3, v13, v10
	s_delay_alu instid0(VALU_DEP_3) | instskip(NEXT) | instid1(VALU_DEP_1)
	v_fmac_f32_e32 v12, v20, v5
	v_fma_f32 v1, -v1, v12, v7
	s_delay_alu instid0(VALU_DEP_1) | instskip(SKIP_4) | instid1(VALU_DEP_2)
	v_div_fmas_f32 v1, v1, v5, v12
	s_mov_b32 vcc_lo, s1
	v_div_scale_f32 v12, s0, 0x3fe46a42, v8, 0x3fe46a42
	v_div_fmas_f32 v3, v3, v6, v13
	v_div_scale_f32 v13, s1, 0xc8396161, v115, 0xc8396161
	v_div_fixup_f32 v3, v3, v115, 0xca32054d
	s_delay_alu instid0(VALU_DEP_1) | instskip(NEXT) | instid1(VALU_DEP_1)
	v_add_f32_e32 v3, 0x49ac46f8, v3
	v_div_scale_f32 v4, null, v115, v115, v3
	v_div_scale_f32 v7, vcc_lo, v3, v115, v3
	s_delay_alu instid0(VALU_DEP_2) | instskip(SKIP_2) | instid1(VALU_DEP_1)
	v_rcp_f32_e32 v5, v4
	s_waitcnt_depctr 0xfff
	v_fma_f32 v6, -v4, v5, 1.0
	v_fmac_f32_e32 v5, v6, v5
	s_delay_alu instid0(VALU_DEP_1) | instskip(NEXT) | instid1(VALU_DEP_1)
	v_mul_f32_e32 v6, v7, v5
	v_fma_f32 v10, -v4, v6, v7
	s_delay_alu instid0(VALU_DEP_1) | instskip(NEXT) | instid1(VALU_DEP_1)
	v_fmac_f32_e32 v6, v10, v5
	v_fma_f32 v4, -v4, v6, v7
	s_delay_alu instid0(VALU_DEP_1) | instskip(SKIP_1) | instid1(VALU_DEP_2)
	v_div_fmas_f32 v4, v4, v5, v6
	v_div_scale_f32 v6, null, v115, v115, 0xc8396161
	v_div_fixup_f32 v3, v4, v115, v3
	v_div_scale_f32 v4, null, v8, v8, 0x3fe46a42
	s_delay_alu instid0(VALU_DEP_3) | instskip(NEXT) | instid1(VALU_DEP_2)
	v_rcp_f32_e32 v11, v6
	v_add_f32_e32 v3, 0xc88e598b, v3
	s_delay_alu instid0(VALU_DEP_2) | instskip(NEXT) | instid1(VALU_DEP_1)
	v_rcp_f32_e32 v10, v4
	v_div_scale_f32 v5, null, v115, v115, v3
	v_div_scale_f32 v21, vcc_lo, v3, v115, v3
	s_waitcnt_depctr 0xfff
	v_fma_f32 v20, -v6, v11, 1.0
	v_rcp_f32_e32 v7, v5
	v_fma_f32 v19, -v4, v10, 1.0
	s_delay_alu instid0(VALU_DEP_1) | instskip(NEXT) | instid1(VALU_DEP_1)
	v_dual_fmac_f32 v11, v20, v11 :: v_dual_fmac_f32 v10, v19, v10
	v_mul_f32_e32 v20, v13, v11
	s_waitcnt_depctr 0xfff
	v_fma_f32 v15, -v5, v7, 1.0
	v_mul_f32_e32 v19, v12, v10
	v_fma_f32 v24, -v6, v20, v13
	s_delay_alu instid0(VALU_DEP_3) | instskip(NEXT) | instid1(VALU_DEP_3)
	v_fmac_f32_e32 v7, v15, v7
	v_fma_f32 v23, -v4, v19, v12
	s_delay_alu instid0(VALU_DEP_3) | instskip(NEXT) | instid1(VALU_DEP_3)
	v_fmac_f32_e32 v20, v24, v11
	v_mul_f32_e32 v15, v21, v7
	s_delay_alu instid0(VALU_DEP_3) | instskip(NEXT) | instid1(VALU_DEP_3)
	v_fmac_f32_e32 v19, v23, v10
	v_fma_f32 v6, -v6, v20, v13
	s_delay_alu instid0(VALU_DEP_3) | instskip(NEXT) | instid1(VALU_DEP_3)
	v_fma_f32 v22, -v5, v15, v21
	v_fma_f32 v4, -v4, v19, v12
	s_delay_alu instid0(VALU_DEP_2) | instskip(NEXT) | instid1(VALU_DEP_1)
	v_fmac_f32_e32 v15, v22, v7
	v_fma_f32 v5, -v5, v15, v21
	s_delay_alu instid0(VALU_DEP_1)
	v_div_fmas_f32 v5, v5, v7, v15
	s_mov_b32 vcc_lo, s0
	s_mov_b32 s0, 0xb62341a3
	v_div_fmas_f32 v4, v4, v10, v19
	s_mov_b32 vcc_lo, s1
	v_div_fixup_f32 v3, v5, v115, v3
	v_div_fmas_f32 v6, v6, v11, v20
	v_fmaak_f32 v11, s0, v115, 0x39bba4b6
	s_mov_b32 s0, 0xb989b133
	s_delay_alu instid0(SALU_CYCLE_1) | instskip(NEXT) | instid1(VALU_DEP_3)
	v_fmaak_f32 v13, s0, v115, 0x3d0f0702
	v_div_fixup_f32 v6, v6, v115, 0xc8396161
	s_delay_alu instid0(VALU_DEP_3) | instskip(SKIP_1) | instid1(VALU_DEP_3)
	v_fmaak_f32 v11, v115, v11, 0xbcbfc8ef
	s_mov_b32 s0, 0x38c36ca9
	v_fmaak_f32 v13, v115, v13, 0xc045f9e0
	s_delay_alu instid0(VALU_DEP_3) | instskip(NEXT) | instid1(VALU_DEP_3)
	v_add_f32_e32 v6, 0x4747cdd7, v6
	v_fmaak_f32 v11, v115, v11, 0x3f480b7a
	v_fmaak_f32 v20, s0, v115, 0xbceb226e
	s_delay_alu instid0(VALU_DEP_4) | instskip(NEXT) | instid1(VALU_DEP_4)
	v_fmaak_f32 v13, v115, v13, 0x42d61304
	v_div_scale_f32 v7, null, v115, v115, v6
	s_delay_alu instid0(VALU_DEP_4) | instskip(NEXT) | instid1(VALU_DEP_3)
	v_fmaak_f32 v11, v115, v11, 0xc18a913f
	v_fmaak_f32 v2, v115, v13, 0xc513e98b
	s_delay_alu instid0(VALU_DEP_3) | instskip(NEXT) | instid1(VALU_DEP_2)
	v_rcp_f32_e32 v10, v7
	v_fmaak_f32 v11, v115, v11, 0x43738477
	s_delay_alu instid0(VALU_DEP_2) | instskip(NEXT) | instid1(VALU_DEP_2)
	v_fmac_f32_e32 v3, v115, v2
	v_fmac_f32_e32 v0, v115, v11
	s_waitcnt_depctr 0xfff
	v_fma_f32 v12, -v7, v10, 1.0
	s_delay_alu instid0(VALU_DEP_1) | instskip(SKIP_1) | instid1(VALU_DEP_1)
	v_fmac_f32_e32 v10, v12, v10
	v_div_scale_f32 v12, vcc_lo, v6, v115, v6
	v_mul_f32_e32 v15, v12, v10
	s_delay_alu instid0(VALU_DEP_1) | instskip(NEXT) | instid1(VALU_DEP_1)
	v_fma_f32 v19, -v7, v15, v12
	v_fmac_f32_e32 v15, v19, v10
	v_fmaak_f32 v19, v115, v20, 0xbf4893b3
	s_delay_alu instid0(VALU_DEP_2) | instskip(NEXT) | instid1(VALU_DEP_2)
	v_fma_f32 v7, -v7, v15, v12
	v_fmaak_f32 v5, v115, v19, 0xc193789b
	s_delay_alu instid0(VALU_DEP_2) | instskip(NEXT) | instid1(VALU_DEP_2)
	v_div_fmas_f32 v7, v7, v10, v15
	v_fmaak_f32 v2, v115, v5, 0x43ca7f94
	s_delay_alu instid0(VALU_DEP_2) | instskip(SKIP_3) | instid1(VALU_DEP_4)
	v_div_fixup_f32 v5, v7, v115, v6
	v_add_f32_e32 v6, 0xc501fb4f, v0
	v_div_fixup_f32 v0, v1, v9, 0x3e42ba39
	v_div_fixup_f32 v7, v4, v8, 0x3fe46a42
	v_fmac_f32_e32 v5, v115, v2
	s_delay_alu instid0(VALU_DEP_3) | instskip(NEXT) | instid1(VALU_DEP_2)
	v_fmac_f32_e32 v0, v17, v6
	v_add_f32_e32 v10, 0xc5d70baa, v5
	v_add_f32_e32 v1, 0x4702f04a, v3
	s_delay_alu instid0(VALU_DEP_1)
	v_fmac_f32_e32 v7, v17, v1
.LBB0_224:
	s_or_b32 exec_lo, exec_lo, s2
	v_fma_f32 v1, 2.0, v16, v16
	s_delay_alu instid0(VALU_DEP_1) | instskip(NEXT) | instid1(VALU_DEP_1)
	v_dual_add_f32 v2, 0xc0b0cf9e, v115 :: v_dual_sub_f32 v1, v1, v17
	v_div_scale_f32 v4, null, v2, v2, 0x40b0cf9e
	s_delay_alu instid0(VALU_DEP_2) | instskip(SKIP_1) | instid1(VALU_DEP_3)
	v_div_scale_f32 v3, null, v18, v18, v1
	v_div_scale_f32 v11, vcc_lo, v1, v18, v1
	v_rcp_f32_e32 v6, v4
	s_delay_alu instid0(VALU_DEP_2) | instskip(SKIP_3) | instid1(VALU_DEP_1)
	v_rcp_f32_e32 v5, v3
	s_waitcnt_depctr 0xfff
	v_fma_f32 v9, -v4, v6, 1.0
	v_fma_f32 v8, -v3, v5, 1.0
	v_dual_fmac_f32 v6, v9, v6 :: v_dual_fmac_f32 v5, v8, v5
	v_div_scale_f32 v8, s0, 0x40b0cf9e, v2, 0x40b0cf9e
	s_delay_alu instid0(VALU_DEP_1) | instskip(NEXT) | instid1(VALU_DEP_1)
	v_dual_mul_f32 v9, v11, v5 :: v_dual_mul_f32 v12, v8, v6
	v_fma_f32 v13, -v3, v9, v11
	s_delay_alu instid0(VALU_DEP_2) | instskip(NEXT) | instid1(VALU_DEP_1)
	v_fma_f32 v15, -v4, v12, v8
	v_dual_fmac_f32 v9, v13, v5 :: v_dual_fmac_f32 v12, v15, v6
	s_delay_alu instid0(VALU_DEP_1) | instskip(NEXT) | instid1(VALU_DEP_2)
	v_fma_f32 v3, -v3, v9, v11
	v_fma_f32 v4, -v4, v12, v8
	s_delay_alu instid0(VALU_DEP_2) | instskip(SKIP_1) | instid1(VALU_DEP_2)
	v_div_fmas_f32 v3, v3, v5, v9
	s_mov_b32 vcc_lo, s0
	v_div_fmas_f32 v4, v4, v6, v12
	s_delay_alu instid0(VALU_DEP_2) | instskip(NEXT) | instid1(VALU_DEP_2)
	v_div_fixup_f32 v1, v3, v18, v1
	v_div_fixup_f32 v13, v4, v2, 0x40b0cf9e
	s_delay_alu instid0(VALU_DEP_1) | instskip(NEXT) | instid1(VALU_DEP_1)
	v_dual_add_f32 v2, 1.0, v0 :: v_dual_fmac_f32 v13, v17, v10
	v_div_scale_f32 v5, null, v2, v2, v0
	v_div_scale_f32 v17, vcc_lo, v0, v2, v0
	s_delay_alu instid0(VALU_DEP_2) | instskip(SKIP_2) | instid1(VALU_DEP_1)
	v_rcp_f32_e32 v9, v5
	s_waitcnt_depctr 0xfff
	v_fma_f32 v15, -v5, v9, 1.0
	v_dual_add_f32 v4, 1.0, v7 :: v_dual_fmac_f32 v9, v15, v9
	s_delay_alu instid0(VALU_DEP_1) | instskip(SKIP_1) | instid1(VALU_DEP_2)
	v_div_scale_f32 v8, null, v4, v4, v7
	v_div_scale_f32 v15, s0, v7, v4, v7
	v_rcp_f32_e32 v11, v8
	s_waitcnt_depctr 0xfff
	v_fma_f32 v19, -v8, v11, 1.0
	s_delay_alu instid0(VALU_DEP_1) | instskip(NEXT) | instid1(VALU_DEP_1)
	v_dual_add_f32 v6, 1.0, v13 :: v_dual_fmac_f32 v11, v19, v11
	v_div_scale_f32 v10, null, v6, v6, v13
	v_div_scale_f32 v21, s1, v13, v6, v13
	s_delay_alu instid0(VALU_DEP_2) | instskip(SKIP_2) | instid1(VALU_DEP_1)
	v_rcp_f32_e32 v12, v10
	s_waitcnt_depctr 0xfff
	v_fma_f32 v20, -v10, v12, 1.0
	v_dual_mul_f32 v19, v17, v9 :: v_dual_fmac_f32 v12, v20, v12
	v_mul_f32_e32 v20, v15, v11
	s_delay_alu instid0(VALU_DEP_2) | instskip(NEXT) | instid1(VALU_DEP_3)
	v_fma_f32 v22, -v5, v19, v17
	v_mul_f32_e32 v23, v21, v12
	s_delay_alu instid0(VALU_DEP_3) | instskip(NEXT) | instid1(VALU_DEP_3)
	v_fma_f32 v24, -v8, v20, v15
	v_fmac_f32_e32 v19, v22, v9
	s_delay_alu instid0(VALU_DEP_3) | instskip(NEXT) | instid1(VALU_DEP_3)
	v_fma_f32 v22, -v10, v23, v21
	v_fmac_f32_e32 v20, v24, v11
	s_delay_alu instid0(VALU_DEP_3) | instskip(NEXT) | instid1(VALU_DEP_2)
	v_fma_f32 v5, -v5, v19, v17
	v_fma_f32 v8, -v8, v20, v15
	s_delay_alu instid0(VALU_DEP_2) | instskip(SKIP_1) | instid1(VALU_DEP_2)
	v_div_fmas_f32 v5, v5, v9, v19
	s_mov_b32 vcc_lo, s0
	v_div_fmas_f32 v8, v8, v11, v20
	s_mov_b32 vcc_lo, s1
	s_delay_alu instid0(VALU_DEP_2) | instskip(NEXT) | instid1(VALU_DEP_2)
	v_div_fixup_f32 v2, v5, v2, v0
	v_div_fixup_f32 v3, v8, v4, v7
	v_fmac_f32_e32 v23, v22, v12
	s_delay_alu instid0(VALU_DEP_3) | instskip(SKIP_1) | instid1(VALU_DEP_3)
	v_fma_f32 v1, -v16, v2, v1
	v_fma_f32 v5, -v14, v2, v16
	;; [unrolled: 1-line block ×3, first 2 shown]
	s_delay_alu instid0(VALU_DEP_1) | instskip(NEXT) | instid1(VALU_DEP_1)
	v_div_fmas_f32 v9, v9, v12, v23
	v_div_fixup_f32 v4, v9, v6, v13
	s_delay_alu instid0(VALU_DEP_1) | instskip(SKIP_4) | instid1(VALU_DEP_3)
	v_sub_f32_e32 v6, v4, v3
	v_sub_f32_e32 v8, v4, v2
	;; [unrolled: 1-line block ×3, first 2 shown]
	v_fma_f32 v3, -v3, v5, v1
	v_fma_f32 v1, v4, v5, -v1
	v_mul_f32_e32 v2, v2, v6
	s_delay_alu instid0(VALU_DEP_1) | instskip(NEXT) | instid1(VALU_DEP_1)
	v_div_scale_f32 v5, null, v2, v2, v1
	v_rcp_f32_e32 v9, v5
	s_waitcnt_depctr 0xfff
	v_fma_f32 v11, -v5, v9, 1.0
	s_delay_alu instid0(VALU_DEP_1) | instskip(NEXT) | instid1(VALU_DEP_1)
	v_dual_fmac_f32 v9, v11, v9 :: v_dual_mul_f32 v8, v6, v8
	v_div_scale_f32 v4, null, v8, v8, v3
	v_div_scale_f32 v12, vcc_lo, v3, v8, v3
	s_delay_alu instid0(VALU_DEP_2) | instskip(SKIP_2) | instid1(VALU_DEP_1)
	v_rcp_f32_e32 v6, v4
	s_waitcnt_depctr 0xfff
	v_fma_f32 v10, -v4, v6, 1.0
	v_fmac_f32_e32 v6, v10, v6
	v_div_scale_f32 v10, s0, v1, v2, v1
	s_delay_alu instid0(VALU_DEP_2) | instskip(NEXT) | instid1(VALU_DEP_2)
	v_mul_f32_e32 v11, v12, v6
	v_mul_f32_e32 v15, v10, v9
	s_delay_alu instid0(VALU_DEP_2) | instskip(NEXT) | instid1(VALU_DEP_2)
	v_fma_f32 v16, -v4, v11, v12
	v_fma_f32 v17, -v5, v15, v10
	s_delay_alu instid0(VALU_DEP_2) | instskip(NEXT) | instid1(VALU_DEP_2)
	v_fmac_f32_e32 v11, v16, v6
	v_fmac_f32_e32 v15, v17, v9
	s_delay_alu instid0(VALU_DEP_2) | instskip(NEXT) | instid1(VALU_DEP_2)
	v_fma_f32 v4, -v4, v11, v12
	v_fma_f32 v5, -v5, v15, v10
	s_delay_alu instid0(VALU_DEP_2) | instskip(SKIP_1) | instid1(VALU_DEP_2)
	v_div_fmas_f32 v4, v4, v6, v11
	s_mov_b32 vcc_lo, s0
	v_div_fmas_f32 v5, v5, v9, v15
	s_delay_alu instid0(VALU_DEP_2) | instskip(NEXT) | instid1(VALU_DEP_2)
	v_div_fixup_f32 v116, v4, v8, v3
	v_div_fixup_f32 v15, v5, v2, v1
	s_delay_alu instid0(VALU_DEP_1) | instskip(NEXT) | instid1(VALU_DEP_1)
	v_sub_f32_e32 v1, v14, v15
	v_sub_f32_e32 v14, v1, v116
.LBB0_225:
	s_or_b32 exec_lo, exec_lo, s15
                                        ; implicit-def: $vgpr115
                                        ; implicit-def: $vgpr17
                                        ; implicit-def: $vgpr16
.LBB0_226:
	s_and_not1_saveexec_b32 s2, s14
	s_cbranch_execz .LBB0_228
; %bb.227:
	v_div_scale_f32 v0, null, v115, v115, 0xc23e4bfd
	v_div_scale_f32 v3, vcc_lo, 0xc23e4bfd, v115, 0xc23e4bfd
	v_div_scale_f32 v8, s0, 0xc307d4bd, v115, 0xc307d4bd
	s_delay_alu instid0(VALU_DEP_3) | instskip(SKIP_3) | instid1(VALU_DEP_1)
	v_rcp_f32_e32 v1, v0
	v_mov_b32_e32 v116, 0
	s_waitcnt_depctr 0xfff
	v_fma_f32 v2, -v0, v1, 1.0
	v_fmac_f32_e32 v1, v2, v1
	s_delay_alu instid0(VALU_DEP_1) | instskip(NEXT) | instid1(VALU_DEP_1)
	v_mul_f32_e32 v2, v3, v1
	v_fma_f32 v4, -v0, v2, v3
	s_delay_alu instid0(VALU_DEP_1) | instskip(NEXT) | instid1(VALU_DEP_1)
	v_fmac_f32_e32 v2, v4, v1
	v_fma_f32 v0, -v0, v2, v3
	s_delay_alu instid0(VALU_DEP_1) | instskip(SKIP_2) | instid1(VALU_DEP_3)
	v_div_fmas_f32 v0, v0, v1, v2
	v_add_f32_e32 v1, 0xbe8cee3d, v115
	v_div_scale_f32 v2, null, v115, v115, 0xc307d4bd
	v_div_fixup_f32 v0, v0, v115, 0xc23e4bfd
	s_delay_alu instid0(VALU_DEP_3) | instskip(NEXT) | instid1(VALU_DEP_3)
	v_div_scale_f32 v4, null, v1, v1, 0x3e8cee3d
	v_rcp_f32_e32 v6, v2
	v_div_scale_f32 v9, s1, 0x3e8cee3d, v1, 0x3e8cee3d
	s_delay_alu instid0(VALU_DEP_3) | instskip(NEXT) | instid1(VALU_DEP_3)
	v_add_f32_e32 v0, 0x41135c5f, v0
	v_rcp_f32_e32 v7, v4
	s_delay_alu instid0(VALU_DEP_1)
	v_div_scale_f32 v3, null, v115, v115, v0
	s_waitcnt_depctr 0xfff
	v_fma_f32 v11, -v2, v6, 1.0
	v_div_scale_f32 v13, vcc_lo, v0, v115, v0
	v_rcp_f32_e32 v5, v3
	v_fma_f32 v12, -v4, v7, 1.0
	s_delay_alu instid0(VALU_DEP_3) | instskip(SKIP_2) | instid1(VALU_DEP_1)
	v_fmac_f32_e32 v6, v11, v6
	s_waitcnt_depctr 0xfff
	v_fma_f32 v10, -v3, v5, 1.0
	v_fmac_f32_e32 v5, v10, v5
	s_delay_alu instid0(VALU_DEP_1) | instskip(NEXT) | instid1(VALU_DEP_1)
	v_dual_fmac_f32 v7, v12, v7 :: v_dual_mul_f32 v10, v13, v5
	v_dual_mul_f32 v11, v8, v6 :: v_dual_mul_f32 v12, v9, v7
	s_delay_alu instid0(VALU_DEP_2) | instskip(NEXT) | instid1(VALU_DEP_2)
	v_fma_f32 v15, -v3, v10, v13
	v_fma_f32 v18, -v2, v11, v8
	s_delay_alu instid0(VALU_DEP_3) | instskip(NEXT) | instid1(VALU_DEP_2)
	v_fma_f32 v19, -v4, v12, v9
	v_dual_fmac_f32 v10, v15, v5 :: v_dual_fmac_f32 v11, v18, v6
	s_delay_alu instid0(VALU_DEP_2) | instskip(NEXT) | instid1(VALU_DEP_2)
	v_fmac_f32_e32 v12, v19, v7
	v_fma_f32 v3, -v3, v10, v13
	s_delay_alu instid0(VALU_DEP_3) | instskip(NEXT) | instid1(VALU_DEP_3)
	v_fma_f32 v2, -v2, v11, v8
	v_fma_f32 v4, -v4, v12, v9
	s_delay_alu instid0(VALU_DEP_3) | instskip(SKIP_2) | instid1(VALU_DEP_2)
	v_div_fmas_f32 v3, v3, v5, v10
	s_mov_b32 vcc_lo, s1
	s_mov_b32 s1, 0xb59a3989
	v_div_fmas_f32 v4, v4, v7, v12
	s_mov_b32 vcc_lo, s0
	v_div_fixup_f32 v3, v3, v115, v0
	v_div_fmas_f32 v2, v2, v6, v11
	v_add_f32_e32 v6, 0xc02e6238, v115
	v_fmaak_f32 v15, s1, v115, 0x39388d8e
	s_mov_b32 s1, 0x39bf52f4
	s_delay_alu instid0(VALU_DEP_3) | instskip(NEXT) | instid1(VALU_DEP_3)
	v_div_fixup_f32 v2, v2, v115, 0xc307d4bd
	v_div_scale_f32 v8, null, v6, v6, 0x402e6238
	v_fmaak_f32 v19, s1, v115, 0xbdc708fb
	s_delay_alu instid0(VALU_DEP_3) | instskip(NEXT) | instid1(VALU_DEP_3)
	v_add_f32_e32 v2, 0xc2ad60db, v2
	v_rcp_f32_e32 v9, v8
	s_delay_alu instid0(VALU_DEP_2) | instskip(NEXT) | instid1(VALU_DEP_2)
	v_fmaak_f32 v0, v115, v19, 0xc080ec6f
	v_div_scale_f32 v5, null, v115, v115, v2
	s_delay_alu instid0(VALU_DEP_1) | instskip(SKIP_2) | instid1(VALU_DEP_1)
	v_rcp_f32_e32 v7, v5
	s_waitcnt_depctr 0xfff
	v_fma_f32 v10, -v5, v7, 1.0
	v_fmac_f32_e32 v7, v10, v7
	v_div_scale_f32 v11, vcc_lo, v2, v115, v2
	v_fma_f32 v10, -v8, v9, 1.0
	s_delay_alu instid0(VALU_DEP_1) | instskip(NEXT) | instid1(VALU_DEP_1)
	v_dual_mul_f32 v12, v11, v7 :: v_dual_fmac_f32 v9, v10, v9
	v_fma_f32 v10, -v5, v12, v11
	s_delay_alu instid0(VALU_DEP_1) | instskip(SKIP_1) | instid1(VALU_DEP_2)
	v_fmac_f32_e32 v12, v10, v7
	v_fmaak_f32 v10, v115, v15, 0xbc8ce3aa
	v_fma_f32 v5, -v5, v12, v11
	s_delay_alu instid0(VALU_DEP_2) | instskip(NEXT) | instid1(VALU_DEP_2)
	v_fmaak_f32 v10, v115, v10, 0xbe0c9671
	v_div_fmas_f32 v5, v5, v7, v12
	s_delay_alu instid0(VALU_DEP_2) | instskip(SKIP_1) | instid1(VALU_DEP_1)
	v_fmac_f32_e32 v3, v115, v10
	v_div_scale_f32 v13, s0, 0x402e6238, v6, 0x402e6238
	s_mov_b32 vcc_lo, s0
	s_delay_alu instid0(VALU_DEP_3) | instskip(NEXT) | instid1(VALU_DEP_2)
	v_div_fixup_f32 v2, v5, v115, v2
	v_mul_f32_e32 v18, v13, v9
	s_delay_alu instid0(VALU_DEP_2) | instskip(SKIP_1) | instid1(VALU_DEP_3)
	v_fmac_f32_e32 v2, v115, v0
	v_div_fixup_f32 v0, v4, v1, 0x3e8cee3d
	v_fma_f32 v15, -v8, v18, v13
	v_add_f32_e32 v1, 0xbcbd4d2c, v3
	s_delay_alu instid0(VALU_DEP_2) | instskip(NEXT) | instid1(VALU_DEP_2)
	v_dual_sub_f32 v3, v16, v14 :: v_dual_fmac_f32 v18, v15, v9
	v_fmac_f32_e32 v0, v17, v1
	s_delay_alu instid0(VALU_DEP_2) | instskip(SKIP_1) | instid1(VALU_DEP_3)
	v_fma_f32 v7, -v8, v18, v13
	v_dual_mov_b32 v13, 0 :: v_dual_add_f32 v2, 0x403eba2b, v2
	v_fmac_f32_e32 v16, v3, v0
	s_delay_alu instid0(VALU_DEP_3) | instskip(NEXT) | instid1(VALU_DEP_1)
	v_div_fmas_f32 v5, v7, v9, v18
	v_div_fixup_f32 v7, v5, v6, 0x402e6238
	s_delay_alu instid0(VALU_DEP_1) | instskip(NEXT) | instid1(VALU_DEP_1)
	v_fmac_f32_e32 v7, v17, v2
	v_dual_add_f32 v1, 1.0, v7 :: v_dual_sub_f32 v2, v7, v0
	s_delay_alu instid0(VALU_DEP_1) | instskip(NEXT) | instid1(VALU_DEP_1)
	v_mul_f32_e32 v1, v1, v16
	v_div_scale_f32 v3, null, v2, v2, v1
	v_div_scale_f32 v6, vcc_lo, v1, v2, v1
	s_delay_alu instid0(VALU_DEP_2) | instskip(SKIP_2) | instid1(VALU_DEP_1)
	v_rcp_f32_e32 v4, v3
	s_waitcnt_depctr 0xfff
	v_fma_f32 v5, -v3, v4, 1.0
	v_fmac_f32_e32 v4, v5, v4
	s_delay_alu instid0(VALU_DEP_1) | instskip(NEXT) | instid1(VALU_DEP_1)
	v_mul_f32_e32 v5, v6, v4
	v_fma_f32 v8, -v3, v5, v6
	s_delay_alu instid0(VALU_DEP_1) | instskip(NEXT) | instid1(VALU_DEP_1)
	v_fmac_f32_e32 v5, v8, v4
	v_fma_f32 v3, -v3, v5, v6
	s_delay_alu instid0(VALU_DEP_1) | instskip(NEXT) | instid1(VALU_DEP_1)
	v_div_fmas_f32 v3, v3, v4, v5
	v_div_fixup_f32 v15, v3, v2, v1
	s_delay_alu instid0(VALU_DEP_1)
	v_sub_f32_e32 v14, v14, v15
.LBB0_228:
	s_or_b32 exec_lo, exec_lo, s2
                                        ; implicit-def: $vgpr16
.LBB0_229:
	s_and_not1_saveexec_b32 s0, s13
	s_cbranch_execz .LBB0_233
; %bb.230:
	v_mov_b32_e32 v116, 0
	v_mov_b32_e32 v0, 0
	s_mov_b32 s1, exec_lo
	v_cmpx_eq_u32_e32 0, v64
	s_cbranch_execz .LBB0_232
; %bb.231:
	v_sub_f32_e32 v0, v14, v16
	s_delay_alu instid0(VALU_DEP_1) | instskip(NEXT) | instid1(VALU_DEP_1)
	v_div_scale_f32 v1, null, v0, v0, v16
	v_rcp_f32_e32 v2, v1
	s_waitcnt_depctr 0xfff
	v_fma_f32 v3, -v1, v2, 1.0
	s_delay_alu instid0(VALU_DEP_1) | instskip(SKIP_1) | instid1(VALU_DEP_1)
	v_fmac_f32_e32 v2, v3, v2
	v_div_scale_f32 v3, vcc_lo, v16, v0, v16
	v_mul_f32_e32 v4, v3, v2
	s_delay_alu instid0(VALU_DEP_1) | instskip(NEXT) | instid1(VALU_DEP_1)
	v_fma_f32 v5, -v1, v4, v3
	v_fmac_f32_e32 v4, v5, v2
	s_delay_alu instid0(VALU_DEP_1) | instskip(NEXT) | instid1(VALU_DEP_1)
	v_fma_f32 v1, -v1, v4, v3
	v_div_fmas_f32 v1, v1, v2, v4
	s_delay_alu instid0(VALU_DEP_1)
	v_div_fixup_f32 v0, v1, v0, v16
.LBB0_232:
	s_or_b32 exec_lo, exec_lo, s1
	v_mov_b32_e32 v15, 0
	v_mov_b32_e32 v13, 0
	;; [unrolled: 1-line block ×3, first 2 shown]
.LBB0_233:
	s_or_b32 exec_lo, exec_lo, s0
.LBB0_234:
	s_delay_alu instid0(SALU_CYCLE_1)
	s_or_b32 exec_lo, exec_lo, s12
                                        ; implicit-def: $vgpr115
.LBB0_235:
	s_and_not1_saveexec_b32 s3, s11
	s_cbranch_execz .LBB0_249
; %bb.236:
	v_div_scale_f32 v0, null, v115, v115, 0xbe405aee
	v_div_scale_f32 v3, vcc_lo, 0xbe405aee, v115, 0xbe405aee
	v_add_f32_e32 v18, v115, v115
	s_delay_alu instid0(VALU_DEP_3) | instskip(SKIP_2) | instid1(VALU_DEP_1)
	v_rcp_f32_e32 v1, v0
                                        ; implicit-def: $vgpr116
                                        ; implicit-def: $vgpr15
                                        ; implicit-def: $vgpr13
	s_waitcnt_depctr 0xfff
	v_fma_f32 v2, -v0, v1, 1.0
	v_fmac_f32_e32 v1, v2, v1
	s_delay_alu instid0(VALU_DEP_1) | instskip(NEXT) | instid1(VALU_DEP_1)
	v_mul_f32_e32 v2, v3, v1
	v_fma_f32 v4, -v0, v2, v3
	s_delay_alu instid0(VALU_DEP_1) | instskip(NEXT) | instid1(VALU_DEP_1)
	v_fmac_f32_e32 v2, v4, v1
	v_fma_f32 v0, -v0, v2, v3
	s_delay_alu instid0(VALU_DEP_1) | instskip(NEXT) | instid1(VALU_DEP_1)
	v_div_fmas_f32 v0, v0, v1, v2
	v_div_fixup_f32 v0, v0, v115, 0xbe405aee
	s_delay_alu instid0(VALU_DEP_1) | instskip(NEXT) | instid1(VALU_DEP_1)
	v_add_f32_e32 v0, 0x3e6b6fc1, v0
	v_div_scale_f32 v1, null, v115, v115, v0
	v_div_scale_f32 v4, vcc_lo, v0, v115, v0
	s_delay_alu instid0(VALU_DEP_2) | instskip(SKIP_2) | instid1(VALU_DEP_1)
	v_rcp_f32_e32 v2, v1
	s_waitcnt_depctr 0xfff
	v_fma_f32 v3, -v1, v2, 1.0
	v_fmac_f32_e32 v2, v3, v2
	s_delay_alu instid0(VALU_DEP_1) | instskip(NEXT) | instid1(VALU_DEP_1)
	v_mul_f32_e32 v3, v4, v2
	v_fma_f32 v5, -v1, v3, v4
	s_delay_alu instid0(VALU_DEP_1) | instskip(NEXT) | instid1(VALU_DEP_1)
	v_fmac_f32_e32 v3, v5, v2
	v_fma_f32 v1, -v1, v3, v4
	s_delay_alu instid0(VALU_DEP_1) | instskip(SKIP_1) | instid1(VALU_DEP_2)
	v_div_fmas_f32 v1, v1, v2, v3
	v_div_scale_f32 v2, null, v115, v115, 0x3f490fdb
	v_div_fixup_f32 v0, v1, v115, v0
	s_delay_alu instid0(VALU_DEP_2) | instskip(NEXT) | instid1(VALU_DEP_1)
	v_rcp_f32_e32 v4, v2
	v_add_f32_e32 v0, 0xbeff74bd, v0
	s_delay_alu instid0(VALU_DEP_1) | instskip(SKIP_4) | instid1(VALU_DEP_2)
	v_div_scale_f32 v1, null, v115, v115, v0
	s_waitcnt_depctr 0xfff
	v_fma_f32 v6, -v2, v4, 1.0
	v_div_scale_f32 v7, vcc_lo, v0, v115, v0
	v_rcp_f32_e32 v3, v1
	v_fmac_f32_e32 v4, v6, v4
	s_waitcnt_depctr 0xfff
	v_fma_f32 v5, -v1, v3, 1.0
	s_delay_alu instid0(VALU_DEP_1) | instskip(SKIP_1) | instid1(VALU_DEP_2)
	v_fmac_f32_e32 v3, v5, v3
	v_div_scale_f32 v5, s0, 0x3f490fdb, v115, 0x3f490fdb
	v_mul_f32_e32 v6, v7, v3
	s_delay_alu instid0(VALU_DEP_2) | instskip(NEXT) | instid1(VALU_DEP_2)
	v_mul_f32_e32 v8, v5, v4
	v_fma_f32 v9, -v1, v6, v7
	s_delay_alu instid0(VALU_DEP_2) | instskip(NEXT) | instid1(VALU_DEP_2)
	v_fma_f32 v10, -v2, v8, v5
	v_fmac_f32_e32 v6, v9, v3
	s_delay_alu instid0(VALU_DEP_2) | instskip(NEXT) | instid1(VALU_DEP_2)
	v_fmac_f32_e32 v8, v10, v4
	v_fma_f32 v1, -v1, v6, v7
	s_delay_alu instid0(VALU_DEP_2) | instskip(NEXT) | instid1(VALU_DEP_2)
	v_fma_f32 v2, -v2, v8, v5
	v_div_fmas_f32 v1, v1, v3, v6
	s_mov_b32 vcc_lo, s0
	s_delay_alu instid0(VALU_DEP_2) | instskip(NEXT) | instid1(VALU_DEP_2)
	v_div_fmas_f32 v2, v2, v4, v8
	v_div_fixup_f32 v0, v1, v115, v0
	s_delay_alu instid0(VALU_DEP_2) | instskip(NEXT) | instid1(VALU_DEP_2)
	v_div_fixup_f32 v2, v2, v115, 0x3f490fdb
	v_add_f32_e32 v0, 0xb7b7d95a, v0
	s_delay_alu instid0(VALU_DEP_2) | instskip(SKIP_1) | instid1(VALU_DEP_2)
	v_mul_f32_e32 v3, 0x4f800000, v2
	v_cmp_gt_f32_e32 vcc_lo, 0xf800000, v2
	v_cndmask_b32_e32 v2, v2, v3, vcc_lo
	v_mul_f32_e32 v3, 0xbfb8aa3b, v115
	s_delay_alu instid0(VALU_DEP_2) | instskip(NEXT) | instid1(VALU_DEP_1)
	v_sqrt_f32_e32 v4, v2
	v_rndne_f32_e32 v5, v3
	v_fma_f32 v6, 0xbfb8aa3b, v115, -v3
	s_delay_alu instid0(VALU_DEP_2) | instskip(NEXT) | instid1(VALU_DEP_2)
	v_sub_f32_e32 v3, v3, v5
	v_fmamk_f32 v6, v115, 0xb2a5705f, v6
	v_cvt_i32_f32_e32 v5, v5
	s_waitcnt_depctr 0xfff
	v_add_nc_u32_e32 v7, -1, v4
	v_dual_add_f32 v3, v3, v6 :: v_dual_add_nc_u32 v6, 1, v4
	s_delay_alu instid0(VALU_DEP_2) | instskip(NEXT) | instid1(VALU_DEP_2)
	v_fma_f32 v8, -v7, v4, v2
	v_exp_f32_e32 v3, v3
	s_delay_alu instid0(VALU_DEP_2) | instskip(NEXT) | instid1(VALU_DEP_2)
	v_fma_f32 v9, -v6, v4, v2
	v_cmp_ge_f32_e64 s0, 0, v8
	s_delay_alu instid0(VALU_DEP_1) | instskip(NEXT) | instid1(VALU_DEP_3)
	v_cndmask_b32_e64 v4, v4, v7, s0
	v_cmp_lt_f32_e64 s0, 0, v9
	s_waitcnt_depctr 0xfff
	v_ldexp_f32 v3, v3, v5
	v_cndmask_b32_e64 v4, v4, v6, s0
	v_cmp_nlt_f32_e64 s0, 0x42ce8ed0, v115
	s_delay_alu instid0(VALU_DEP_2) | instskip(NEXT) | instid1(VALU_DEP_2)
	v_mul_f32_e32 v5, 0x37800000, v4
	v_cndmask_b32_e64 v3, 0, v3, s0
	s_mov_b32 s0, exec_lo
	s_delay_alu instid0(VALU_DEP_2) | instskip(SKIP_1) | instid1(VALU_DEP_3)
	v_cndmask_b32_e32 v1, v4, v5, vcc_lo
	v_cmp_ngt_f32_e32 vcc_lo, 0xc2b17218, v115
	v_cndmask_b32_e32 v17, 0x7f800000, v3, vcc_lo
	v_cmp_class_f32_e64 vcc_lo, v2, 0x260
	s_delay_alu instid0(VALU_DEP_4) | instskip(NEXT) | instid1(VALU_DEP_1)
	v_cndmask_b32_e32 v14, v1, v2, vcc_lo
	v_fmac_f32_e32 v14, v17, v0
	s_delay_alu instid0(VALU_DEP_1) | instskip(NEXT) | instid1(VALU_DEP_1)
	v_sub_f32_e32 v0, v14, v17
	v_div_scale_f32 v1, null, v18, v18, v0
	v_div_scale_f32 v4, vcc_lo, v0, v18, v0
	s_delay_alu instid0(VALU_DEP_2) | instskip(SKIP_2) | instid1(VALU_DEP_1)
	v_rcp_f32_e32 v2, v1
	s_waitcnt_depctr 0xfff
	v_fma_f32 v3, -v1, v2, 1.0
	v_fmac_f32_e32 v2, v3, v2
	s_delay_alu instid0(VALU_DEP_1) | instskip(NEXT) | instid1(VALU_DEP_1)
	v_mul_f32_e32 v3, v4, v2
	v_fma_f32 v5, -v1, v3, v4
	s_delay_alu instid0(VALU_DEP_1) | instskip(NEXT) | instid1(VALU_DEP_1)
	v_fmac_f32_e32 v3, v5, v2
	v_fma_f32 v1, -v1, v3, v4
	s_delay_alu instid0(VALU_DEP_1) | instskip(NEXT) | instid1(VALU_DEP_1)
	v_div_fmas_f32 v1, v1, v2, v3
	v_div_fixup_f32 v16, v1, v18, v0
	v_cmpx_lt_i32_e32 0, v64
	s_xor_b32 s11, exec_lo, s0
                                        ; implicit-def: $vgpr0_vgpr1_vgpr2_vgpr3_vgpr4_vgpr5_vgpr6
                                        ; implicit-def: $vgpr6_vgpr7_vgpr8_vgpr9_vgpr10_vgpr11_vgpr12
	s_cbranch_execz .LBB0_244
; %bb.237:
                                        ; implicit-def: $vgpr116
                                        ; implicit-def: $vgpr15
                                        ; implicit-def: $vgpr13
	s_mov_b32 s0, exec_lo
	v_cmpx_lt_i32_e32 1, v64
	s_xor_b32 s12, exec_lo, s0
                                        ; implicit-def: $vgpr0_vgpr1_vgpr2_vgpr3_vgpr4_vgpr5_vgpr6
                                        ; implicit-def: $vgpr6_vgpr7_vgpr8_vgpr9_vgpr10_vgpr11_vgpr12
	s_cbranch_execz .LBB0_241
; %bb.238:
	v_dual_mov_b32 v116, 0 :: v_dual_mov_b32 v15, 0
	v_dual_mov_b32 v13, 0 :: v_dual_mov_b32 v0, 0
	v_mov_b32_e32 v7, 0
	s_mov_b32 s13, exec_lo
	v_cmpx_eq_u32_e32 2, v64
	s_cbranch_execz .LBB0_240
; %bb.239:
	v_fma_f32 v4, 2.0, v16, v16
	v_add_f32_e32 v1, 0xc1480000, v115
	s_mov_b32 s0, 0x25fedf51
	s_mov_b32 s1, 0x27670864
	s_delay_alu instid0(VALU_DEP_2) | instskip(NEXT) | instid1(VALU_DEP_2)
	v_sub_f32_e32 v4, v4, v17
	v_fmaak_f32 v0, s0, v1, 0xa747bc7d
	s_mov_b32 s0, 0x27f6d9a2
	s_delay_alu instid0(SALU_CYCLE_1) | instskip(NEXT) | instid1(VALU_DEP_3)
	v_fmaak_f32 v2, s0, v1, 0xa8430508
	v_div_scale_f32 v5, null, v18, v18, v4
	v_div_scale_f32 v10, vcc_lo, v4, v18, v4
	s_delay_alu instid0(VALU_DEP_3) | instskip(NEXT) | instid1(VALU_DEP_3)
	v_fmaak_f32 v2, v1, v2, 0xab717b68
	v_rcp_f32_e32 v6, v5
	s_delay_alu instid0(VALU_DEP_1) | instskip(NEXT) | instid1(VALU_DEP_1)
	v_fmaak_f32 v2, v1, v2, 0x2ce9b5e5
	v_fmaak_f32 v2, v1, v2, 0x2e530dc3
	s_waitcnt_depctr 0xfff
	v_fma_f32 v8, -v5, v6, 1.0
	v_fmaak_f32 v3, s1, v1, 0xa8f64f4f
	v_fmaak_f32 v2, v1, v2, 0xb09bdff9
	s_delay_alu instid0(VALU_DEP_2) | instskip(NEXT) | instid1(VALU_DEP_2)
	v_dual_fmac_f32 v6, v8, v6 :: v_dual_fmaak_f32 v3, v1, v3, 0xaab1bb1a
	v_fmaak_f32 v2, v1, v2, 0x31f37576
	s_delay_alu instid0(VALU_DEP_2) | instskip(NEXT) | instid1(VALU_DEP_3)
	v_mul_f32_e32 v17, v10, v6
	v_fmaak_f32 v3, v1, v3, 0x2d183ebc
	s_delay_alu instid0(VALU_DEP_3) | instskip(NEXT) | instid1(VALU_DEP_3)
	v_fmaak_f32 v2, v1, v2, 0xb370614f
	v_fma_f32 v20, -v5, v17, v10
	s_delay_alu instid0(VALU_DEP_3) | instskip(NEXT) | instid1(VALU_DEP_3)
	v_fmaak_f32 v3, v1, v3, 0xae776687
	v_fmaak_f32 v2, v1, v2, 0x362874f9
	s_delay_alu instid0(VALU_DEP_3) | instskip(NEXT) | instid1(VALU_DEP_3)
	v_fmac_f32_e32 v17, v20, v6
	v_fmaak_f32 v3, v1, v3, 0xb054272a
	s_delay_alu instid0(VALU_DEP_3) | instskip(NEXT) | instid1(VALU_DEP_3)
	v_fmaak_f32 v2, v1, v2, 0xb88b2efe
	v_fma_f32 v5, -v5, v17, v10
	s_delay_alu instid0(VALU_DEP_3) | instskip(NEXT) | instid1(VALU_DEP_3)
	v_fmaak_f32 v3, v1, v3, 0x32b15a72
	v_fmaak_f32 v2, v1, v2, 0x3a92a77e
	s_delay_alu instid0(VALU_DEP_3) | instskip(NEXT) | instid1(VALU_DEP_3)
	v_div_fmas_f32 v5, v5, v6, v17
	v_fmaak_f32 v3, v1, v3, 0xb428554c
	s_delay_alu instid0(VALU_DEP_3) | instskip(NEXT) | instid1(VALU_DEP_3)
	v_fmaak_f32 v2, v1, v2, 0xbc6e2917
	v_div_fixup_f32 v4, v5, v18, v4
	s_delay_alu instid0(VALU_DEP_3) | instskip(NEXT) | instid1(VALU_DEP_3)
	v_fmaak_f32 v3, v1, v3, 0xb5d3fb27
	v_fmaak_f32 v7, v1, v2, 0x3e290a2d
	s_delay_alu instid0(VALU_DEP_2) | instskip(NEXT) | instid1(VALU_DEP_2)
	v_fmaak_f32 v3, v1, v3, 0x3883953b
	v_add_f32_e32 v9, 1.0, v7
	s_delay_alu instid0(VALU_DEP_2) | instskip(NEXT) | instid1(VALU_DEP_1)
	v_fmaak_f32 v3, v1, v3, 0xba84c991
	v_fmaak_f32 v3, v1, v3, 0x3c3a9de9
	s_delay_alu instid0(VALU_DEP_1) | instskip(NEXT) | instid1(VALU_DEP_1)
	v_fmaak_f32 v2, v1, v3, 0xbdcfc4d6
	v_fmaak_f32 v13, v1, v2, 0x3f46f6d6
	;; [unrolled: 1-line block ×3, first 2 shown]
	v_div_scale_f32 v2, null, v9, v9, v7
	s_delay_alu instid0(VALU_DEP_2) | instskip(NEXT) | instid1(VALU_DEP_2)
	v_dual_add_f32 v11, 1.0, v13 :: v_dual_fmaak_f32 v0, v1, v0, 0x2b176e28
	v_rcp_f32_e32 v12, v2
	s_delay_alu instid0(VALU_DEP_1) | instskip(NEXT) | instid1(VALU_DEP_2)
	v_div_scale_f32 v15, null, v11, v11, v13
	v_fmaak_f32 v0, v1, v0, 0x2c0470c6
	s_delay_alu instid0(VALU_DEP_2) | instskip(NEXT) | instid1(VALU_DEP_1)
	v_rcp_f32_e32 v19, v15
	v_fmaak_f32 v0, v1, v0, 0xaebeb7e0
	s_waitcnt_depctr 0xfff
	v_fma_f32 v22, -v2, v12, 1.0
	v_fmaak_f32 v0, v1, v0, 0x30438a61
	s_delay_alu instid0(VALU_DEP_2) | instskip(SKIP_1) | instid1(VALU_DEP_3)
	v_fmac_f32_e32 v12, v22, v12
	v_div_scale_f32 v22, s2, v13, v11, v13
	v_fmaak_f32 v0, v1, v0, 0xb17459f3
	s_delay_alu instid0(VALU_DEP_1) | instskip(NEXT) | instid1(VALU_DEP_1)
	v_fmaak_f32 v0, v1, v0, 0x340b003d
	v_fmaak_f32 v0, v1, v0, 0xb68afd6b
	s_delay_alu instid0(VALU_DEP_1) | instskip(NEXT) | instid1(VALU_DEP_1)
	v_fmaak_f32 v0, v1, v0, 0x38a8b361
	;; [unrolled: 3-line block ×3, first 2 shown]
	v_add_f32_e32 v3, 1.0, v0
	s_delay_alu instid0(VALU_DEP_1) | instskip(SKIP_1) | instid1(VALU_DEP_1)
	v_div_scale_f32 v1, null, v3, v3, v0
	v_div_scale_f32 v23, s0, v0, v3, v0
	s_mov_b32 vcc_lo, s0
	s_delay_alu instid0(VALU_DEP_2) | instskip(SKIP_2) | instid1(VALU_DEP_1)
	v_rcp_f32_e32 v8, v1
	s_waitcnt_depctr 0xfff
	v_fma_f32 v21, -v1, v8, 1.0
	v_fmac_f32_e32 v8, v21, v8
	v_fma_f32 v21, -v15, v19, 1.0
	s_delay_alu instid0(VALU_DEP_2) | instskip(NEXT) | instid1(VALU_DEP_2)
	v_mul_f32_e32 v25, v23, v8
	v_fmac_f32_e32 v19, v21, v19
	s_delay_alu instid0(VALU_DEP_2) | instskip(NEXT) | instid1(VALU_DEP_2)
	v_fma_f32 v20, -v1, v25, v23
	v_mul_f32_e32 v116, v22, v19
	v_div_scale_f32 v24, s1, v7, v9, v7
	s_delay_alu instid0(VALU_DEP_3) | instskip(NEXT) | instid1(VALU_DEP_3)
	v_fmac_f32_e32 v25, v20, v8
	v_fma_f32 v10, -v15, v116, v22
	s_delay_alu instid0(VALU_DEP_3) | instskip(NEXT) | instid1(VALU_DEP_3)
	v_mul_f32_e32 v115, v24, v12
	v_fma_f32 v1, -v1, v25, v23
	s_delay_alu instid0(VALU_DEP_3) | instskip(NEXT) | instid1(VALU_DEP_3)
	v_fmac_f32_e32 v116, v10, v19
	v_fma_f32 v21, -v2, v115, v24
	s_delay_alu instid0(VALU_DEP_3) | instskip(NEXT) | instid1(VALU_DEP_3)
	v_div_fmas_f32 v1, v1, v8, v25
	v_fma_f32 v6, -v15, v116, v22
	s_mov_b32 vcc_lo, s1
	s_delay_alu instid0(VALU_DEP_2) | instskip(SKIP_1) | instid1(VALU_DEP_2)
	v_div_fixup_f32 v1, v1, v3, v0
	v_fmac_f32_e32 v115, v21, v12
	v_fma_f32 v4, -v16, v1, v4
	s_delay_alu instid0(VALU_DEP_2) | instskip(SKIP_1) | instid1(VALU_DEP_2)
	v_fma_f32 v2, -v2, v115, v24
	v_fma_f32 v5, -v14, v1, v16
	v_div_fmas_f32 v2, v2, v12, v115
	s_mov_b32 vcc_lo, s2
	v_div_fmas_f32 v6, v6, v19, v116
	s_delay_alu instid0(VALU_DEP_2) | instskip(NEXT) | instid1(VALU_DEP_2)
	v_div_fixup_f32 v2, v2, v9, v7
	v_div_fixup_f32 v3, v6, v11, v13
	s_delay_alu instid0(VALU_DEP_1) | instskip(NEXT) | instid1(VALU_DEP_3)
	v_sub_f32_e32 v8, v3, v1
	v_dual_sub_f32 v6, v3, v2 :: v_dual_sub_f32 v1, v2, v1
	v_fma_f32 v2, -v2, v5, v4
	v_fma_f32 v3, v3, v5, -v4
	s_delay_alu instid0(VALU_DEP_3) | instskip(NEXT) | instid1(VALU_DEP_1)
	v_dual_mul_f32 v8, v6, v8 :: v_dual_mul_f32 v1, v1, v6
	v_div_scale_f32 v4, null, v8, v8, v2
	s_delay_alu instid0(VALU_DEP_2) | instskip(SKIP_1) | instid1(VALU_DEP_3)
	v_div_scale_f32 v5, null, v1, v1, v3
	v_div_scale_f32 v12, vcc_lo, v2, v8, v2
	v_rcp_f32_e32 v6, v4
	s_delay_alu instid0(VALU_DEP_2) | instskip(SKIP_3) | instid1(VALU_DEP_2)
	v_rcp_f32_e32 v9, v5
	s_waitcnt_depctr 0xfff
	v_fma_f32 v10, -v4, v6, 1.0
	v_fma_f32 v11, -v5, v9, 1.0
	v_fmac_f32_e32 v6, v10, v6
	v_div_scale_f32 v10, s0, v3, v1, v3
	s_delay_alu instid0(VALU_DEP_3) | instskip(NEXT) | instid1(VALU_DEP_3)
	v_fmac_f32_e32 v9, v11, v9
	v_mul_f32_e32 v11, v12, v6
	s_delay_alu instid0(VALU_DEP_2) | instskip(NEXT) | instid1(VALU_DEP_2)
	v_mul_f32_e32 v15, v10, v9
	v_fma_f32 v16, -v4, v11, v12
	s_delay_alu instid0(VALU_DEP_2) | instskip(NEXT) | instid1(VALU_DEP_2)
	v_fma_f32 v17, -v5, v15, v10
	v_fmac_f32_e32 v11, v16, v6
	s_delay_alu instid0(VALU_DEP_2) | instskip(NEXT) | instid1(VALU_DEP_2)
	v_fmac_f32_e32 v15, v17, v9
	v_fma_f32 v4, -v4, v11, v12
	s_delay_alu instid0(VALU_DEP_2) | instskip(NEXT) | instid1(VALU_DEP_2)
	v_fma_f32 v5, -v5, v15, v10
	v_div_fmas_f32 v4, v4, v6, v11
	s_mov_b32 vcc_lo, s0
	s_delay_alu instid0(VALU_DEP_2) | instskip(NEXT) | instid1(VALU_DEP_2)
	v_div_fmas_f32 v5, v5, v9, v15
	v_div_fixup_f32 v116, v4, v8, v2
	s_delay_alu instid0(VALU_DEP_2) | instskip(NEXT) | instid1(VALU_DEP_1)
	v_div_fixup_f32 v15, v5, v1, v3
	v_sub_f32_e32 v1, v14, v15
	s_delay_alu instid0(VALU_DEP_1)
	v_sub_f32_e32 v14, v1, v116
.LBB0_240:
	s_or_b32 exec_lo, exec_lo, s13
                                        ; implicit-def: $vgpr115
                                        ; implicit-def: $vgpr17
                                        ; implicit-def: $vgpr16
.LBB0_241:
	s_and_not1_saveexec_b32 s2, s12
	s_cbranch_execz .LBB0_243
; %bb.242:
	v_div_scale_f32 v0, null, v115, v115, 0xc6060060
	v_div_scale_f32 v3, vcc_lo, 0xc6060060, v115, 0xc6060060
	v_div_scale_f32 v8, s0, 0xc5024921, v115, 0xc5024921
	s_delay_alu instid0(VALU_DEP_3) | instskip(SKIP_3) | instid1(VALU_DEP_1)
	v_rcp_f32_e32 v1, v0
	v_mov_b32_e32 v116, 0
	s_waitcnt_depctr 0xfff
	v_fma_f32 v2, -v0, v1, 1.0
	v_fmac_f32_e32 v1, v2, v1
	s_delay_alu instid0(VALU_DEP_1) | instskip(NEXT) | instid1(VALU_DEP_1)
	v_mul_f32_e32 v2, v3, v1
	v_fma_f32 v4, -v0, v2, v3
	s_delay_alu instid0(VALU_DEP_1) | instskip(NEXT) | instid1(VALU_DEP_1)
	v_fmac_f32_e32 v2, v4, v1
	v_fma_f32 v0, -v0, v2, v3
	s_delay_alu instid0(VALU_DEP_1) | instskip(NEXT) | instid1(VALU_DEP_1)
	v_div_fmas_f32 v0, v0, v1, v2
	v_div_fixup_f32 v0, v0, v115, 0xc6060060
	s_delay_alu instid0(VALU_DEP_1) | instskip(NEXT) | instid1(VALU_DEP_1)
	v_add_f32_e32 v0, 0x45b8b07a, v0
	v_div_scale_f32 v1, null, v115, v115, v0
	v_div_scale_f32 v4, vcc_lo, v0, v115, v0
	s_delay_alu instid0(VALU_DEP_2) | instskip(SKIP_2) | instid1(VALU_DEP_1)
	v_rcp_f32_e32 v2, v1
	s_waitcnt_depctr 0xfff
	v_fma_f32 v3, -v1, v2, 1.0
	v_fmac_f32_e32 v2, v3, v2
	s_delay_alu instid0(VALU_DEP_1) | instskip(NEXT) | instid1(VALU_DEP_1)
	v_mul_f32_e32 v3, v4, v2
	v_fma_f32 v5, -v1, v3, v4
	s_delay_alu instid0(VALU_DEP_1) | instskip(NEXT) | instid1(VALU_DEP_1)
	v_fmac_f32_e32 v3, v5, v2
	v_fma_f32 v1, -v1, v3, v4
	s_delay_alu instid0(VALU_DEP_1) | instskip(NEXT) | instid1(VALU_DEP_1)
	v_div_fmas_f32 v1, v1, v2, v3
	v_div_fixup_f32 v0, v1, v115, v0
	s_delay_alu instid0(VALU_DEP_1) | instskip(NEXT) | instid1(VALU_DEP_1)
	v_add_f32_e32 v0, 0xc4d58275, v0
	v_div_scale_f32 v1, null, v115, v115, v0
	v_div_scale_f32 v4, vcc_lo, v0, v115, v0
	s_delay_alu instid0(VALU_DEP_2) | instskip(SKIP_2) | instid1(VALU_DEP_1)
	v_rcp_f32_e32 v2, v1
	s_waitcnt_depctr 0xfff
	v_fma_f32 v3, -v1, v2, 1.0
	v_fmac_f32_e32 v2, v3, v2
	s_delay_alu instid0(VALU_DEP_1) | instskip(NEXT) | instid1(VALU_DEP_1)
	v_mul_f32_e32 v3, v4, v2
	v_fma_f32 v5, -v1, v3, v4
	s_delay_alu instid0(VALU_DEP_1) | instskip(NEXT) | instid1(VALU_DEP_1)
	v_fmac_f32_e32 v3, v5, v2
	v_fma_f32 v1, -v1, v3, v4
	s_delay_alu instid0(VALU_DEP_1) | instskip(SKIP_1) | instid1(VALU_DEP_2)
	v_div_fmas_f32 v1, v1, v2, v3
	v_div_scale_f32 v2, null, v115, v115, 0xc5024921
	v_div_fixup_f32 v0, v1, v115, v0
	v_add_f32_e32 v1, 0xbe8cee3d, v115
	s_delay_alu instid0(VALU_DEP_3) | instskip(NEXT) | instid1(VALU_DEP_2)
	v_rcp_f32_e32 v6, v2
	v_add_f32_e32 v0, 0x438444b2, v0
	s_delay_alu instid0(VALU_DEP_2) | instskip(SKIP_1) | instid1(VALU_DEP_3)
	v_div_scale_f32 v4, null, v1, v1, 0x3e8cee3d
	v_div_scale_f32 v9, s1, 0x3e8cee3d, v1, 0x3e8cee3d
	v_div_scale_f32 v3, null, v115, v115, v0
	s_delay_alu instid0(VALU_DEP_3) | instskip(SKIP_4) | instid1(VALU_DEP_2)
	v_rcp_f32_e32 v7, v4
	s_waitcnt_depctr 0xfff
	v_fma_f32 v11, -v2, v6, 1.0
	v_div_scale_f32 v13, vcc_lo, v0, v115, v0
	v_rcp_f32_e32 v5, v3
	v_fmac_f32_e32 v6, v11, v6
	v_fma_f32 v12, -v4, v7, 1.0
	s_waitcnt_depctr 0xfff
	v_fma_f32 v10, -v3, v5, 1.0
	v_fmac_f32_e32 v7, v12, v7
	v_mul_f32_e32 v11, v8, v6
	s_delay_alu instid0(VALU_DEP_2) | instskip(NEXT) | instid1(VALU_DEP_2)
	v_dual_fmac_f32 v5, v10, v5 :: v_dual_mul_f32 v12, v9, v7
	v_fma_f32 v18, -v2, v11, v8
	s_delay_alu instid0(VALU_DEP_2) | instskip(NEXT) | instid1(VALU_DEP_3)
	v_mul_f32_e32 v10, v13, v5
	v_fma_f32 v19, -v4, v12, v9
	s_delay_alu instid0(VALU_DEP_3) | instskip(NEXT) | instid1(VALU_DEP_3)
	v_fmac_f32_e32 v11, v18, v6
	v_fma_f32 v15, -v3, v10, v13
	s_delay_alu instid0(VALU_DEP_3) | instskip(NEXT) | instid1(VALU_DEP_3)
	v_fmac_f32_e32 v12, v19, v7
	;; [unrolled: 3-line block ×3, first 2 shown]
	v_fma_f32 v4, -v4, v12, v9
	s_delay_alu instid0(VALU_DEP_2) | instskip(NEXT) | instid1(VALU_DEP_1)
	v_fma_f32 v3, -v3, v10, v13
	v_div_fmas_f32 v3, v3, v5, v10
	s_mov_b32 vcc_lo, s1
	s_mov_b32 s1, 0xb72984d9
	v_div_fmas_f32 v4, v4, v7, v12
	s_mov_b32 vcc_lo, s0
	v_div_fixup_f32 v3, v3, v115, v0
	v_div_fmas_f32 v2, v2, v6, v11
	v_fmaak_f32 v15, s1, v115, 0x3a9c9bdc
	s_mov_b32 s1, 0x39b1bf10
	s_delay_alu instid0(SALU_CYCLE_1) | instskip(NEXT) | instid1(VALU_DEP_3)
	v_fmaak_f32 v19, s1, v115, 0xbdbf7bb1
	v_div_fixup_f32 v2, v2, v115, 0xc5024921
	s_delay_alu instid0(VALU_DEP_2) | instskip(NEXT) | instid1(VALU_DEP_2)
	v_fmaak_f32 v0, v115, v19, 0xc0871bf9
	v_add_f32_e32 v2, 0xc4833fb4, v2
	s_delay_alu instid0(VALU_DEP_1) | instskip(SKIP_1) | instid1(VALU_DEP_2)
	v_div_scale_f32 v5, null, v115, v115, v2
	v_div_scale_f32 v8, vcc_lo, v2, v115, v2
	v_rcp_f32_e32 v6, v5
	s_waitcnt_depctr 0xfff
	v_fma_f32 v7, -v5, v6, 1.0
	s_delay_alu instid0(VALU_DEP_1) | instskip(NEXT) | instid1(VALU_DEP_1)
	v_fmac_f32_e32 v6, v7, v6
	v_mul_f32_e32 v7, v8, v6
	s_delay_alu instid0(VALU_DEP_1) | instskip(NEXT) | instid1(VALU_DEP_1)
	v_fma_f32 v9, -v5, v7, v8
	v_fmac_f32_e32 v7, v9, v6
	s_delay_alu instid0(VALU_DEP_1) | instskip(NEXT) | instid1(VALU_DEP_1)
	v_fma_f32 v5, -v5, v7, v8
	v_div_fmas_f32 v5, v5, v6, v7
	s_delay_alu instid0(VALU_DEP_1) | instskip(NEXT) | instid1(VALU_DEP_1)
	v_div_fixup_f32 v2, v5, v115, v2
	v_add_f32_e32 v2, 0x43a9f21d, v2
	s_delay_alu instid0(VALU_DEP_1) | instskip(SKIP_1) | instid1(VALU_DEP_2)
	v_div_scale_f32 v5, null, v115, v115, v2
	v_div_scale_f32 v8, vcc_lo, v2, v115, v2
	v_rcp_f32_e32 v6, v5
	s_waitcnt_depctr 0xfff
	v_fma_f32 v7, -v5, v6, 1.0
	s_delay_alu instid0(VALU_DEP_1) | instskip(NEXT) | instid1(VALU_DEP_1)
	v_fmac_f32_e32 v6, v7, v6
	v_mul_f32_e32 v7, v8, v6
	s_delay_alu instid0(VALU_DEP_1) | instskip(NEXT) | instid1(VALU_DEP_1)
	v_fma_f32 v9, -v5, v7, v8
	v_fmac_f32_e32 v7, v9, v6
	s_delay_alu instid0(VALU_DEP_1) | instskip(NEXT) | instid1(VALU_DEP_1)
	v_fma_f32 v5, -v5, v7, v8
	v_div_fmas_f32 v5, v5, v6, v7
	v_add_f32_e32 v6, 0xc02e6238, v115
	s_delay_alu instid0(VALU_DEP_2) | instskip(NEXT) | instid1(VALU_DEP_2)
	v_div_fixup_f32 v2, v5, v115, v2
	v_div_scale_f32 v8, null, v6, v6, 0x402e6238
	v_div_scale_f32 v13, s0, 0x402e6238, v6, 0x402e6238
	s_delay_alu instid0(VALU_DEP_3) | instskip(NEXT) | instid1(VALU_DEP_3)
	v_add_f32_e32 v2, 0xc31c2f4f, v2
	v_rcp_f32_e32 v9, v8
	s_delay_alu instid0(VALU_DEP_1) | instskip(SKIP_1) | instid1(VALU_DEP_2)
	v_div_scale_f32 v5, null, v115, v115, v2
	v_div_scale_f32 v11, vcc_lo, v2, v115, v2
	v_rcp_f32_e32 v7, v5
	s_waitcnt_depctr 0xfff
	v_fma_f32 v10, -v5, v7, 1.0
	s_delay_alu instid0(VALU_DEP_1) | instskip(SKIP_1) | instid1(VALU_DEP_1)
	v_fmac_f32_e32 v7, v10, v7
	v_fma_f32 v10, -v8, v9, 1.0
	v_dual_mul_f32 v12, v11, v7 :: v_dual_fmac_f32 v9, v10, v9
	s_delay_alu instid0(VALU_DEP_1) | instskip(NEXT) | instid1(VALU_DEP_2)
	v_fma_f32 v10, -v5, v12, v11
	v_mul_f32_e32 v18, v13, v9
	s_delay_alu instid0(VALU_DEP_2) | instskip(SKIP_1) | instid1(VALU_DEP_3)
	v_fmac_f32_e32 v12, v10, v7
	v_fmaak_f32 v10, v115, v15, 0xbd89fc71
	v_fma_f32 v15, -v8, v18, v13
	s_delay_alu instid0(VALU_DEP_2) | instskip(NEXT) | instid1(VALU_DEP_1)
	v_fmaak_f32 v10, v115, v10, 0x3fa0e734
	v_fmac_f32_e32 v3, v115, v10
	v_fma_f32 v5, -v5, v12, v11
	s_delay_alu instid0(VALU_DEP_4) | instskip(NEXT) | instid1(VALU_DEP_2)
	v_fmac_f32_e32 v18, v15, v9
	v_div_fmas_f32 v5, v5, v7, v12
	s_mov_b32 vcc_lo, s0
	s_delay_alu instid0(VALU_DEP_1) | instskip(NEXT) | instid1(VALU_DEP_1)
	v_div_fixup_f32 v2, v5, v115, v2
	v_fmac_f32_e32 v2, v115, v0
	v_div_fixup_f32 v0, v4, v1, 0x3e8cee3d
	v_add_f32_e32 v1, 0xc1bedb3d, v3
	v_fma_f32 v7, -v8, v18, v13
	s_delay_alu instid0(VALU_DEP_4) | instskip(NEXT) | instid1(VALU_DEP_3)
	v_dual_mov_b32 v13, 0 :: v_dual_add_f32 v2, 0x4100225e, v2
	v_dual_sub_f32 v3, v16, v14 :: v_dual_fmac_f32 v0, v17, v1
	s_delay_alu instid0(VALU_DEP_3) | instskip(NEXT) | instid1(VALU_DEP_2)
	v_div_fmas_f32 v5, v7, v9, v18
	v_fmac_f32_e32 v16, v3, v0
	s_delay_alu instid0(VALU_DEP_2) | instskip(NEXT) | instid1(VALU_DEP_1)
	v_div_fixup_f32 v7, v5, v6, 0x402e6238
	v_fmac_f32_e32 v7, v17, v2
	s_delay_alu instid0(VALU_DEP_1) | instskip(NEXT) | instid1(VALU_DEP_1)
	v_dual_add_f32 v1, 1.0, v7 :: v_dual_sub_f32 v2, v7, v0
	v_mul_f32_e32 v1, v1, v16
	s_delay_alu instid0(VALU_DEP_1) | instskip(SKIP_1) | instid1(VALU_DEP_2)
	v_div_scale_f32 v3, null, v2, v2, v1
	v_div_scale_f32 v6, vcc_lo, v1, v2, v1
	v_rcp_f32_e32 v4, v3
	s_waitcnt_depctr 0xfff
	v_fma_f32 v5, -v3, v4, 1.0
	s_delay_alu instid0(VALU_DEP_1) | instskip(NEXT) | instid1(VALU_DEP_1)
	v_fmac_f32_e32 v4, v5, v4
	v_mul_f32_e32 v5, v6, v4
	s_delay_alu instid0(VALU_DEP_1) | instskip(NEXT) | instid1(VALU_DEP_1)
	v_fma_f32 v8, -v3, v5, v6
	v_fmac_f32_e32 v5, v8, v4
	s_delay_alu instid0(VALU_DEP_1) | instskip(NEXT) | instid1(VALU_DEP_1)
	v_fma_f32 v3, -v3, v5, v6
	v_div_fmas_f32 v3, v3, v4, v5
	s_delay_alu instid0(VALU_DEP_1) | instskip(NEXT) | instid1(VALU_DEP_1)
	v_div_fixup_f32 v15, v3, v2, v1
	v_sub_f32_e32 v14, v14, v15
.LBB0_243:
	s_or_b32 exec_lo, exec_lo, s2
                                        ; implicit-def: $vgpr16
.LBB0_244:
	s_and_not1_saveexec_b32 s0, s11
	s_cbranch_execz .LBB0_248
; %bb.245:
	v_mov_b32_e32 v116, 0
	v_mov_b32_e32 v0, 0
	s_mov_b32 s1, exec_lo
	v_cmpx_eq_u32_e32 0, v64
	s_cbranch_execz .LBB0_247
; %bb.246:
	v_sub_f32_e32 v0, v14, v16
	s_delay_alu instid0(VALU_DEP_1) | instskip(NEXT) | instid1(VALU_DEP_1)
	v_div_scale_f32 v1, null, v0, v0, v16
	v_rcp_f32_e32 v2, v1
	s_waitcnt_depctr 0xfff
	v_fma_f32 v3, -v1, v2, 1.0
	s_delay_alu instid0(VALU_DEP_1) | instskip(SKIP_1) | instid1(VALU_DEP_1)
	v_fmac_f32_e32 v2, v3, v2
	v_div_scale_f32 v3, vcc_lo, v16, v0, v16
	v_mul_f32_e32 v4, v3, v2
	s_delay_alu instid0(VALU_DEP_1) | instskip(NEXT) | instid1(VALU_DEP_1)
	v_fma_f32 v5, -v1, v4, v3
	v_fmac_f32_e32 v4, v5, v2
	s_delay_alu instid0(VALU_DEP_1) | instskip(NEXT) | instid1(VALU_DEP_1)
	v_fma_f32 v1, -v1, v4, v3
	v_div_fmas_f32 v1, v1, v2, v4
	s_delay_alu instid0(VALU_DEP_1)
	v_div_fixup_f32 v0, v1, v0, v16
.LBB0_247:
	s_or_b32 exec_lo, exec_lo, s1
	v_mov_b32_e32 v15, 0
	v_mov_b32_e32 v13, 0
	;; [unrolled: 1-line block ×3, first 2 shown]
.LBB0_248:
	s_or_b32 exec_lo, exec_lo, s0
.LBB0_249:
	s_delay_alu instid0(SALU_CYCLE_1)
	s_or_b32 exec_lo, exec_lo, s3
                                        ; implicit-def: $vgpr115
.LBB0_250:
	s_and_not1_saveexec_b32 s3, s10
	s_cbranch_execz .LBB0_264
; %bb.251:
	v_div_scale_f32 v0, null, v115, v115, 0x3ef01d82
	v_div_scale_f32 v3, vcc_lo, 0x3ef01d82, v115, 0x3ef01d82
                                        ; implicit-def: $vgpr116
                                        ; implicit-def: $vgpr15
                                        ; implicit-def: $vgpr13
	v_add_f32_e32 v17, v115, v115
	s_delay_alu instid0(VALU_DEP_3) | instskip(SKIP_2) | instid1(VALU_DEP_1)
	v_rcp_f32_e32 v1, v0
	s_waitcnt_depctr 0xfff
	v_fma_f32 v2, -v0, v1, 1.0
	v_fmac_f32_e32 v1, v2, v1
	s_delay_alu instid0(VALU_DEP_1) | instskip(NEXT) | instid1(VALU_DEP_1)
	v_mul_f32_e32 v2, v3, v1
	v_fma_f32 v4, -v0, v2, v3
	s_delay_alu instid0(VALU_DEP_1) | instskip(NEXT) | instid1(VALU_DEP_1)
	v_fmac_f32_e32 v2, v4, v1
	v_fma_f32 v0, -v0, v2, v3
	s_delay_alu instid0(VALU_DEP_1) | instskip(NEXT) | instid1(VALU_DEP_1)
	v_div_fmas_f32 v0, v0, v1, v2
	v_div_fixup_f32 v0, v0, v115, 0x3ef01d82
	s_delay_alu instid0(VALU_DEP_1) | instskip(NEXT) | instid1(VALU_DEP_1)
	v_add_f32_e32 v0, 0xbf33161b, v0
	v_div_scale_f32 v1, null, v115, v115, v0
	v_div_scale_f32 v4, vcc_lo, v0, v115, v0
	s_delay_alu instid0(VALU_DEP_2) | instskip(SKIP_2) | instid1(VALU_DEP_1)
	v_rcp_f32_e32 v2, v1
	s_waitcnt_depctr 0xfff
	v_fma_f32 v3, -v1, v2, 1.0
	v_fmac_f32_e32 v2, v3, v2
	s_delay_alu instid0(VALU_DEP_1) | instskip(NEXT) | instid1(VALU_DEP_1)
	v_mul_f32_e32 v3, v4, v2
	v_fma_f32 v5, -v1, v3, v4
	s_delay_alu instid0(VALU_DEP_1) | instskip(NEXT) | instid1(VALU_DEP_1)
	v_fmac_f32_e32 v3, v5, v2
	v_fma_f32 v1, -v1, v3, v4
	s_delay_alu instid0(VALU_DEP_1) | instskip(NEXT) | instid1(VALU_DEP_1)
	v_div_fmas_f32 v1, v1, v2, v3
	v_div_fixup_f32 v0, v1, v115, v0
	s_delay_alu instid0(VALU_DEP_1) | instskip(NEXT) | instid1(VALU_DEP_1)
	v_add_f32_e32 v0, 0x3f0971cf, v0
	v_div_scale_f32 v1, null, v115, v115, v0
	v_div_scale_f32 v4, vcc_lo, v0, v115, v0
	s_delay_alu instid0(VALU_DEP_2) | instskip(SKIP_2) | instid1(VALU_DEP_1)
	;; [unrolled: 18-line block ×4, first 2 shown]
	v_rcp_f32_e32 v2, v1
	s_waitcnt_depctr 0xfff
	v_fma_f32 v3, -v1, v2, 1.0
	v_fmac_f32_e32 v2, v3, v2
	s_delay_alu instid0(VALU_DEP_1) | instskip(NEXT) | instid1(VALU_DEP_1)
	v_mul_f32_e32 v3, v4, v2
	v_fma_f32 v5, -v1, v3, v4
	s_delay_alu instid0(VALU_DEP_1) | instskip(NEXT) | instid1(VALU_DEP_1)
	v_fmac_f32_e32 v3, v5, v2
	v_fma_f32 v1, -v1, v3, v4
	s_delay_alu instid0(VALU_DEP_1) | instskip(SKIP_1) | instid1(VALU_DEP_2)
	v_div_fmas_f32 v1, v1, v2, v3
	v_div_scale_f32 v2, null, v115, v115, 0x3f490fdb
	v_div_fixup_f32 v0, v1, v115, v0
	s_delay_alu instid0(VALU_DEP_2) | instskip(NEXT) | instid1(VALU_DEP_1)
	v_rcp_f32_e32 v4, v2
	v_add_f32_e32 v0, 0xbeffeb20, v0
	s_delay_alu instid0(VALU_DEP_1) | instskip(SKIP_4) | instid1(VALU_DEP_2)
	v_div_scale_f32 v1, null, v115, v115, v0
	s_waitcnt_depctr 0xfff
	v_fma_f32 v6, -v2, v4, 1.0
	v_div_scale_f32 v7, vcc_lo, v0, v115, v0
	v_rcp_f32_e32 v3, v1
	v_fmac_f32_e32 v4, v6, v4
	s_waitcnt_depctr 0xfff
	v_fma_f32 v5, -v1, v3, 1.0
	s_delay_alu instid0(VALU_DEP_1) | instskip(SKIP_1) | instid1(VALU_DEP_2)
	v_fmac_f32_e32 v3, v5, v3
	v_div_scale_f32 v5, s0, 0x3f490fdb, v115, 0x3f490fdb
	v_mul_f32_e32 v6, v7, v3
	s_delay_alu instid0(VALU_DEP_2) | instskip(NEXT) | instid1(VALU_DEP_2)
	v_mul_f32_e32 v8, v5, v4
	v_fma_f32 v9, -v1, v6, v7
	s_delay_alu instid0(VALU_DEP_2) | instskip(NEXT) | instid1(VALU_DEP_2)
	v_fma_f32 v10, -v2, v8, v5
	v_fmac_f32_e32 v6, v9, v3
	s_delay_alu instid0(VALU_DEP_2) | instskip(NEXT) | instid1(VALU_DEP_2)
	v_fmac_f32_e32 v8, v10, v4
	v_fma_f32 v1, -v1, v6, v7
	s_delay_alu instid0(VALU_DEP_2) | instskip(NEXT) | instid1(VALU_DEP_2)
	v_fma_f32 v2, -v2, v8, v5
	v_div_fmas_f32 v1, v1, v3, v6
	s_mov_b32 vcc_lo, s0
	s_delay_alu instid0(VALU_DEP_2) | instskip(NEXT) | instid1(VALU_DEP_2)
	v_div_fmas_f32 v2, v2, v4, v8
	v_div_fixup_f32 v0, v1, v115, v0
	s_delay_alu instid0(VALU_DEP_2) | instskip(NEXT) | instid1(VALU_DEP_2)
	v_div_fixup_f32 v2, v2, v115, 0x3f490fdb
	v_add_f32_e32 v0, 0xb6536671, v0
	s_delay_alu instid0(VALU_DEP_2) | instskip(SKIP_1) | instid1(VALU_DEP_2)
	v_mul_f32_e32 v3, 0x4f800000, v2
	v_cmp_gt_f32_e32 vcc_lo, 0xf800000, v2
	v_cndmask_b32_e32 v2, v2, v3, vcc_lo
	v_mul_f32_e32 v3, 0xbfb8aa3b, v115
	s_delay_alu instid0(VALU_DEP_1) | instskip(SKIP_1) | instid1(VALU_DEP_2)
	v_rndne_f32_e32 v5, v3
	v_fma_f32 v6, 0xbfb8aa3b, v115, -v3
	v_sub_f32_e32 v3, v3, v5
	s_delay_alu instid0(VALU_DEP_2) | instskip(SKIP_1) | instid1(VALU_DEP_2)
	v_fmamk_f32 v6, v115, 0xb2a5705f, v6
	v_cvt_i32_f32_e32 v5, v5
	v_add_f32_e32 v3, v3, v6
	v_sqrt_f32_e32 v4, v2
	s_delay_alu instid0(VALU_DEP_1) | instskip(SKIP_4) | instid1(VALU_DEP_3)
	v_exp_f32_e32 v3, v3
	s_waitcnt_depctr 0xfff
	v_add_nc_u32_e32 v7, -1, v4
	v_add_nc_u32_e32 v6, 1, v4
	v_ldexp_f32 v3, v3, v5
	v_fma_f32 v8, -v7, v4, v2
	s_delay_alu instid0(VALU_DEP_3) | instskip(NEXT) | instid1(VALU_DEP_2)
	v_fma_f32 v9, -v6, v4, v2
	v_cmp_ge_f32_e64 s0, 0, v8
	s_delay_alu instid0(VALU_DEP_1) | instskip(NEXT) | instid1(VALU_DEP_3)
	v_cndmask_b32_e64 v4, v4, v7, s0
	v_cmp_lt_f32_e64 s0, 0, v9
	s_delay_alu instid0(VALU_DEP_1) | instskip(SKIP_1) | instid1(VALU_DEP_2)
	v_cndmask_b32_e64 v4, v4, v6, s0
	v_cmp_nlt_f32_e64 s0, 0x42ce8ed0, v115
	v_mul_f32_e32 v5, 0x37800000, v4
	s_delay_alu instid0(VALU_DEP_2) | instskip(SKIP_1) | instid1(VALU_DEP_2)
	v_cndmask_b32_e64 v3, 0, v3, s0
	s_mov_b32 s0, exec_lo
	v_cndmask_b32_e32 v1, v4, v5, vcc_lo
	v_cmp_ngt_f32_e32 vcc_lo, 0xc2b17218, v115
	s_delay_alu instid0(VALU_DEP_3) | instskip(SKIP_1) | instid1(VALU_DEP_4)
	v_cndmask_b32_e32 v18, 0x7f800000, v3, vcc_lo
	v_cmp_class_f32_e64 vcc_lo, v2, 0x260
	v_cndmask_b32_e32 v14, v1, v2, vcc_lo
	s_delay_alu instid0(VALU_DEP_1) | instskip(NEXT) | instid1(VALU_DEP_1)
	v_fmac_f32_e32 v14, v18, v0
	v_sub_f32_e32 v0, v14, v18
	s_delay_alu instid0(VALU_DEP_1) | instskip(SKIP_1) | instid1(VALU_DEP_2)
	v_div_scale_f32 v1, null, v17, v17, v0
	v_div_scale_f32 v4, vcc_lo, v0, v17, v0
	v_rcp_f32_e32 v2, v1
	s_waitcnt_depctr 0xfff
	v_fma_f32 v3, -v1, v2, 1.0
	s_delay_alu instid0(VALU_DEP_1) | instskip(NEXT) | instid1(VALU_DEP_1)
	v_fmac_f32_e32 v2, v3, v2
	v_mul_f32_e32 v3, v4, v2
	s_delay_alu instid0(VALU_DEP_1) | instskip(NEXT) | instid1(VALU_DEP_1)
	v_fma_f32 v5, -v1, v3, v4
	v_fmac_f32_e32 v3, v5, v2
	s_delay_alu instid0(VALU_DEP_1) | instskip(NEXT) | instid1(VALU_DEP_1)
	v_fma_f32 v1, -v1, v3, v4
	v_div_fmas_f32 v1, v1, v2, v3
	s_delay_alu instid0(VALU_DEP_1)
	v_div_fixup_f32 v16, v1, v17, v0
	v_cmpx_lt_i32_e32 0, v64
	s_xor_b32 s10, exec_lo, s0
                                        ; implicit-def: $vgpr0_vgpr1_vgpr2_vgpr3_vgpr4_vgpr5_vgpr6
                                        ; implicit-def: $vgpr6_vgpr7_vgpr8_vgpr9_vgpr10_vgpr11_vgpr12
	s_cbranch_execz .LBB0_259
; %bb.252:
                                        ; implicit-def: $vgpr116
                                        ; implicit-def: $vgpr15
                                        ; implicit-def: $vgpr13
	s_mov_b32 s0, exec_lo
	v_cmpx_lt_i32_e32 1, v64
	s_xor_b32 s11, exec_lo, s0
                                        ; implicit-def: $vgpr0_vgpr1_vgpr2_vgpr3_vgpr4_vgpr5_vgpr6
                                        ; implicit-def: $vgpr6_vgpr7_vgpr8_vgpr9_vgpr10_vgpr11_vgpr12
	s_cbranch_execz .LBB0_256
; %bb.253:
	v_dual_mov_b32 v116, 0 :: v_dual_mov_b32 v15, 0
	v_dual_mov_b32 v13, 0 :: v_dual_mov_b32 v0, 0
	v_mov_b32_e32 v7, 0
	s_mov_b32 s12, exec_lo
	v_cmpx_eq_u32_e32 2, v64
	s_cbranch_execz .LBB0_255
; %bb.254:
	v_fma_f32 v4, 2.0, v16, v16
	v_add_f32_e32 v1, 0xc0f00000, v115
	s_mov_b32 s0, 0x26259169
	s_mov_b32 s1, 0x27f012f7
	s_delay_alu instid0(VALU_DEP_2) | instskip(NEXT) | instid1(VALU_DEP_2)
	v_sub_f32_e32 v4, v4, v18
	v_fmaak_f32 v0, s0, v1, 0x264d2fc8
	s_mov_b32 s0, 0x284c6614
	s_delay_alu instid0(SALU_CYCLE_1) | instskip(NEXT) | instid1(VALU_DEP_3)
	v_fmaak_f32 v2, s0, v1, 0x27fbf9fd
	v_div_scale_f32 v5, null, v17, v17, v4
	v_div_scale_f32 v10, vcc_lo, v4, v17, v4
	s_delay_alu instid0(VALU_DEP_3) | instskip(NEXT) | instid1(VALU_DEP_3)
	v_fmaak_f32 v2, v1, v2, 0xab71f1f5
	v_rcp_f32_e32 v6, v5
	s_delay_alu instid0(VALU_DEP_1) | instskip(NEXT) | instid1(VALU_DEP_1)
	v_fmaak_f32 v2, v1, v2, 0xacba40b2
	v_fmaak_f32 v2, v1, v2, 0xaddb36cc
	s_waitcnt_depctr 0xfff
	v_fma_f32 v8, -v5, v6, 1.0
	v_fmaak_f32 v3, s1, v1, 0x2a503dd5
	v_fmaak_f32 v2, v1, v2, 0x313c1292
	s_delay_alu instid0(VALU_DEP_2) | instskip(NEXT) | instid1(VALU_DEP_2)
	v_dual_fmac_f32 v6, v8, v6 :: v_dual_fmaak_f32 v3, v1, v3, 0xac0bb11f
	v_fmaak_f32 v2, v1, v2, 0xb2373c3d
	s_delay_alu instid0(VALU_DEP_2) | instskip(NEXT) | instid1(VALU_DEP_2)
	v_dual_mul_f32 v18, v10, v6 :: v_dual_fmaak_f32 v3, v1, v3, 0xadcb20ac
	v_fmaak_f32 v2, v1, v2, 0xb4ec5bd9
	s_delay_alu instid0(VALU_DEP_2) | instskip(NEXT) | instid1(VALU_DEP_3)
	v_fma_f32 v20, -v5, v18, v10
	v_fmaak_f32 v3, v1, v3, 0x2fd764bb
	s_delay_alu instid0(VALU_DEP_3) | instskip(NEXT) | instid1(VALU_DEP_2)
	v_fmaak_f32 v2, v1, v2, 0x37226b9e
	v_dual_fmac_f32 v18, v20, v6 :: v_dual_fmaak_f32 v3, v1, v3, 0x30e4956d
	s_delay_alu instid0(VALU_DEP_2) | instskip(NEXT) | instid1(VALU_DEP_2)
	v_fmaak_f32 v2, v1, v2, 0xb93061d2
	v_fma_f32 v5, -v5, v18, v10
	s_delay_alu instid0(VALU_DEP_3) | instskip(NEXT) | instid1(VALU_DEP_3)
	v_fmaak_f32 v3, v1, v3, 0xb385439a
	v_fmaak_f32 v2, v1, v2, 0x3b309523
	s_delay_alu instid0(VALU_DEP_3) | instskip(NEXT) | instid1(VALU_DEP_3)
	v_div_fmas_f32 v5, v5, v6, v18
	v_fmaak_f32 v3, v1, v3, 0x3216a907
	s_delay_alu instid0(VALU_DEP_3) | instskip(NEXT) | instid1(VALU_DEP_3)
	v_fmaak_f32 v2, v1, v2, 0xbd04a59d
	v_div_fixup_f32 v4, v5, v17, v4
	s_delay_alu instid0(VALU_DEP_3) | instskip(NEXT) | instid1(VALU_DEP_3)
	v_fmaak_f32 v3, v1, v3, 0x3716877f
	v_fmaak_f32 v7, v1, v2, 0x3e8d4bde
	s_delay_alu instid0(VALU_DEP_2) | instskip(NEXT) | instid1(VALU_DEP_2)
	v_fmaak_f32 v3, v1, v3, 0xb803cc7a
	v_add_f32_e32 v9, 1.0, v7
	s_delay_alu instid0(VALU_DEP_2) | instskip(NEXT) | instid1(VALU_DEP_1)
	v_fmaak_f32 v3, v1, v3, 0xbaf1106b
	v_fmaak_f32 v3, v1, v3, 0x3d0fdee6
	s_delay_alu instid0(VALU_DEP_1) | instskip(NEXT) | instid1(VALU_DEP_1)
	v_fmaak_f32 v2, v1, v3, 0xbea5091a
	v_fmaak_f32 v13, v1, v2, 0x3fde2f9f
	;; [unrolled: 1-line block ×3, first 2 shown]
	v_div_scale_f32 v2, null, v9, v9, v7
	s_delay_alu instid0(VALU_DEP_2) | instskip(NEXT) | instid1(VALU_DEP_2)
	v_dual_add_f32 v11, 1.0, v13 :: v_dual_fmaak_f32 v0, v1, v0, 0xab30554d
	v_rcp_f32_e32 v12, v2
	s_delay_alu instid0(VALU_DEP_1) | instskip(NEXT) | instid1(VALU_DEP_2)
	v_div_scale_f32 v15, null, v11, v11, v13
	v_fmaak_f32 v0, v1, v0, 0x2d676934
	s_delay_alu instid0(VALU_DEP_2) | instskip(NEXT) | instid1(VALU_DEP_1)
	v_rcp_f32_e32 v19, v15
	v_fmaak_f32 v0, v1, v0, 0xae3a6c9b
	s_waitcnt_depctr 0xfff
	v_fma_f32 v22, -v2, v12, 1.0
	v_fmaak_f32 v0, v1, v0, 0x30bf15ab
	s_delay_alu instid0(VALU_DEP_2) | instskip(SKIP_1) | instid1(VALU_DEP_3)
	v_fmac_f32_e32 v12, v22, v12
	v_div_scale_f32 v22, s2, v13, v11, v13
	v_fmaak_f32 v0, v1, v0, 0xb347e8b8
	s_delay_alu instid0(VALU_DEP_1) | instskip(NEXT) | instid1(VALU_DEP_1)
	v_fmaak_f32 v0, v1, v0, 0x35453202
	v_fmaak_f32 v0, v1, v0, 0xb7364b67
	s_delay_alu instid0(VALU_DEP_1) | instskip(NEXT) | instid1(VALU_DEP_1)
	v_fmaak_f32 v0, v1, v0, 0x393a92d3
	;; [unrolled: 3-line block ×3, first 2 shown]
	v_add_f32_e32 v3, 1.0, v0
	s_delay_alu instid0(VALU_DEP_1) | instskip(SKIP_1) | instid1(VALU_DEP_1)
	v_div_scale_f32 v1, null, v3, v3, v0
	v_div_scale_f32 v23, s0, v0, v3, v0
	s_mov_b32 vcc_lo, s0
	s_delay_alu instid0(VALU_DEP_2) | instskip(SKIP_2) | instid1(VALU_DEP_1)
	v_rcp_f32_e32 v8, v1
	s_waitcnt_depctr 0xfff
	v_fma_f32 v21, -v1, v8, 1.0
	v_fmac_f32_e32 v8, v21, v8
	v_fma_f32 v21, -v15, v19, 1.0
	s_delay_alu instid0(VALU_DEP_2) | instskip(NEXT) | instid1(VALU_DEP_2)
	v_mul_f32_e32 v25, v23, v8
	v_fmac_f32_e32 v19, v21, v19
	s_delay_alu instid0(VALU_DEP_2) | instskip(NEXT) | instid1(VALU_DEP_2)
	v_fma_f32 v20, -v1, v25, v23
	v_mul_f32_e32 v116, v22, v19
	v_div_scale_f32 v24, s1, v7, v9, v7
	s_delay_alu instid0(VALU_DEP_3) | instskip(NEXT) | instid1(VALU_DEP_3)
	v_fmac_f32_e32 v25, v20, v8
	v_fma_f32 v10, -v15, v116, v22
	s_delay_alu instid0(VALU_DEP_3) | instskip(NEXT) | instid1(VALU_DEP_3)
	v_mul_f32_e32 v115, v24, v12
	v_fma_f32 v1, -v1, v25, v23
	s_delay_alu instid0(VALU_DEP_3) | instskip(NEXT) | instid1(VALU_DEP_3)
	v_fmac_f32_e32 v116, v10, v19
	v_fma_f32 v21, -v2, v115, v24
	s_delay_alu instid0(VALU_DEP_3) | instskip(NEXT) | instid1(VALU_DEP_3)
	v_div_fmas_f32 v1, v1, v8, v25
	v_fma_f32 v6, -v15, v116, v22
	s_mov_b32 vcc_lo, s1
	s_delay_alu instid0(VALU_DEP_2) | instskip(SKIP_1) | instid1(VALU_DEP_2)
	v_div_fixup_f32 v1, v1, v3, v0
	v_fmac_f32_e32 v115, v21, v12
	v_fma_f32 v4, -v16, v1, v4
	s_delay_alu instid0(VALU_DEP_2) | instskip(SKIP_1) | instid1(VALU_DEP_2)
	v_fma_f32 v2, -v2, v115, v24
	v_fma_f32 v5, -v14, v1, v16
	v_div_fmas_f32 v2, v2, v12, v115
	s_mov_b32 vcc_lo, s2
	v_div_fmas_f32 v6, v6, v19, v116
	s_delay_alu instid0(VALU_DEP_2) | instskip(NEXT) | instid1(VALU_DEP_2)
	v_div_fixup_f32 v2, v2, v9, v7
	v_div_fixup_f32 v3, v6, v11, v13
	s_delay_alu instid0(VALU_DEP_1) | instskip(NEXT) | instid1(VALU_DEP_3)
	v_sub_f32_e32 v8, v3, v1
	v_dual_sub_f32 v6, v3, v2 :: v_dual_sub_f32 v1, v2, v1
	v_fma_f32 v2, -v2, v5, v4
	v_fma_f32 v3, v3, v5, -v4
	s_delay_alu instid0(VALU_DEP_3) | instskip(NEXT) | instid1(VALU_DEP_1)
	v_dual_mul_f32 v8, v6, v8 :: v_dual_mul_f32 v1, v1, v6
	v_div_scale_f32 v4, null, v8, v8, v2
	s_delay_alu instid0(VALU_DEP_2) | instskip(SKIP_1) | instid1(VALU_DEP_3)
	v_div_scale_f32 v5, null, v1, v1, v3
	v_div_scale_f32 v12, vcc_lo, v2, v8, v2
	v_rcp_f32_e32 v6, v4
	s_delay_alu instid0(VALU_DEP_2) | instskip(SKIP_3) | instid1(VALU_DEP_2)
	v_rcp_f32_e32 v9, v5
	s_waitcnt_depctr 0xfff
	v_fma_f32 v10, -v4, v6, 1.0
	v_fma_f32 v11, -v5, v9, 1.0
	v_fmac_f32_e32 v6, v10, v6
	v_div_scale_f32 v10, s0, v3, v1, v3
	s_delay_alu instid0(VALU_DEP_3) | instskip(NEXT) | instid1(VALU_DEP_3)
	v_fmac_f32_e32 v9, v11, v9
	v_mul_f32_e32 v11, v12, v6
	s_delay_alu instid0(VALU_DEP_2) | instskip(NEXT) | instid1(VALU_DEP_2)
	v_mul_f32_e32 v15, v10, v9
	v_fma_f32 v16, -v4, v11, v12
	s_delay_alu instid0(VALU_DEP_2) | instskip(NEXT) | instid1(VALU_DEP_2)
	v_fma_f32 v17, -v5, v15, v10
	v_fmac_f32_e32 v11, v16, v6
	s_delay_alu instid0(VALU_DEP_2) | instskip(NEXT) | instid1(VALU_DEP_2)
	v_fmac_f32_e32 v15, v17, v9
	v_fma_f32 v4, -v4, v11, v12
	s_delay_alu instid0(VALU_DEP_2) | instskip(NEXT) | instid1(VALU_DEP_2)
	v_fma_f32 v5, -v5, v15, v10
	v_div_fmas_f32 v4, v4, v6, v11
	s_mov_b32 vcc_lo, s0
	s_delay_alu instid0(VALU_DEP_2) | instskip(NEXT) | instid1(VALU_DEP_2)
	v_div_fmas_f32 v5, v5, v9, v15
	v_div_fixup_f32 v116, v4, v8, v2
	s_delay_alu instid0(VALU_DEP_2) | instskip(NEXT) | instid1(VALU_DEP_1)
	v_div_fixup_f32 v15, v5, v1, v3
	v_sub_f32_e32 v1, v14, v15
	s_delay_alu instid0(VALU_DEP_1)
	v_sub_f32_e32 v14, v1, v116
.LBB0_255:
	s_or_b32 exec_lo, exec_lo, s12
                                        ; implicit-def: $vgpr115
                                        ; implicit-def: $vgpr16
.LBB0_256:
	s_and_not1_saveexec_b32 s0, s11
	s_cbranch_execz .LBB0_258
; %bb.257:
	s_delay_alu instid0(VALU_DEP_1) | instskip(SKIP_2) | instid1(VALU_DEP_2)
	v_dual_add_f32 v0, 0xc0f00000, v115 :: v_dual_sub_f32 v3, v16, v14
	s_mov_b32 s1, 0xa52598e6
	v_dual_mov_b32 v116, 0 :: v_dual_mov_b32 v13, 0
	v_fmaak_f32 v1, s1, v0, 0x25894ff5
	s_mov_b32 s1, 0x28e01771
	s_delay_alu instid0(SALU_CYCLE_1) | instskip(NEXT) | instid1(VALU_DEP_2)
	v_fmaak_f32 v2, s1, v0, 0xaa19400c
	v_fmaak_f32 v1, v0, v1, 0x2874b170
	s_delay_alu instid0(VALU_DEP_2) | instskip(NEXT) | instid1(VALU_DEP_1)
	v_fmaak_f32 v2, v0, v2, 0xac1c860c
	v_fmaak_f32 v2, v0, v2, 0x2e384d81
	s_delay_alu instid0(VALU_DEP_1) | instskip(NEXT) | instid1(VALU_DEP_1)
	v_fmaak_f32 v2, v0, v2, 0xaf746414
	v_fmaak_f32 v2, v0, v2, 0xb1345520
	s_delay_alu instid0(VALU_DEP_1) | instskip(NEXT) | instid1(VALU_DEP_1)
	;; [unrolled: 3-line block ×5, first 2 shown]
	v_fmaak_f32 v2, v0, v2, 0xbdc345bc
	v_fmaak_f32 v7, v0, v2, 0x3f0b75bc
	;; [unrolled: 1-line block ×3, first 2 shown]
	s_delay_alu instid0(VALU_DEP_1) | instskip(NEXT) | instid1(VALU_DEP_1)
	v_fmaak_f32 v1, v0, v1, 0xab59476c
	v_fmaak_f32 v1, v0, v1, 0x2d09438a
	s_delay_alu instid0(VALU_DEP_1) | instskip(NEXT) | instid1(VALU_DEP_1)
	v_fmaak_f32 v1, v0, v1, 0x2e91c462
	v_fmaak_f32 v1, v0, v1, 0xb0f4081c
	;; [unrolled: 3-line block ×5, first 2 shown]
	s_delay_alu instid0(VALU_DEP_1) | instskip(NEXT) | instid1(VALU_DEP_1)
	v_dual_fmaak_f32 v0, v0, v1, 0x3d188f1d :: v_dual_add_f32 v1, 1.0, v7
	v_fmac_f32_e32 v16, v3, v0
	v_sub_f32_e32 v2, v7, v0
	s_delay_alu instid0(VALU_DEP_2) | instskip(NEXT) | instid1(VALU_DEP_1)
	v_mul_f32_e32 v1, v1, v16
	v_div_scale_f32 v3, null, v2, v2, v1
	v_div_scale_f32 v6, vcc_lo, v1, v2, v1
	s_delay_alu instid0(VALU_DEP_2) | instskip(SKIP_2) | instid1(VALU_DEP_1)
	v_rcp_f32_e32 v4, v3
	s_waitcnt_depctr 0xfff
	v_fma_f32 v5, -v3, v4, 1.0
	v_fmac_f32_e32 v4, v5, v4
	s_delay_alu instid0(VALU_DEP_1) | instskip(NEXT) | instid1(VALU_DEP_1)
	v_mul_f32_e32 v5, v6, v4
	v_fma_f32 v8, -v3, v5, v6
	s_delay_alu instid0(VALU_DEP_1) | instskip(NEXT) | instid1(VALU_DEP_1)
	v_fmac_f32_e32 v5, v8, v4
	v_fma_f32 v3, -v3, v5, v6
	s_delay_alu instid0(VALU_DEP_1) | instskip(NEXT) | instid1(VALU_DEP_1)
	v_div_fmas_f32 v3, v3, v4, v5
	v_div_fixup_f32 v15, v3, v2, v1
	s_delay_alu instid0(VALU_DEP_1)
	v_sub_f32_e32 v14, v14, v15
.LBB0_258:
	s_or_b32 exec_lo, exec_lo, s0
                                        ; implicit-def: $vgpr16
.LBB0_259:
	s_and_not1_saveexec_b32 s0, s10
	s_cbranch_execz .LBB0_263
; %bb.260:
	v_mov_b32_e32 v116, 0
	v_mov_b32_e32 v0, 0
	s_mov_b32 s1, exec_lo
	v_cmpx_eq_u32_e32 0, v64
	s_cbranch_execz .LBB0_262
; %bb.261:
	v_sub_f32_e32 v0, v14, v16
	s_delay_alu instid0(VALU_DEP_1) | instskip(NEXT) | instid1(VALU_DEP_1)
	v_div_scale_f32 v1, null, v0, v0, v16
	v_rcp_f32_e32 v2, v1
	s_waitcnt_depctr 0xfff
	v_fma_f32 v3, -v1, v2, 1.0
	s_delay_alu instid0(VALU_DEP_1) | instskip(SKIP_1) | instid1(VALU_DEP_1)
	v_fmac_f32_e32 v2, v3, v2
	v_div_scale_f32 v3, vcc_lo, v16, v0, v16
	v_mul_f32_e32 v4, v3, v2
	s_delay_alu instid0(VALU_DEP_1) | instskip(NEXT) | instid1(VALU_DEP_1)
	v_fma_f32 v5, -v1, v4, v3
	v_fmac_f32_e32 v4, v5, v2
	s_delay_alu instid0(VALU_DEP_1) | instskip(NEXT) | instid1(VALU_DEP_1)
	v_fma_f32 v1, -v1, v4, v3
	v_div_fmas_f32 v1, v1, v2, v4
	s_delay_alu instid0(VALU_DEP_1)
	v_div_fixup_f32 v0, v1, v0, v16
.LBB0_262:
	s_or_b32 exec_lo, exec_lo, s1
	v_mov_b32_e32 v15, 0
	v_mov_b32_e32 v13, 0
	v_mov_b32_e32 v7, 0
.LBB0_263:
	s_or_b32 exec_lo, exec_lo, s0
.LBB0_264:
	s_delay_alu instid0(SALU_CYCLE_1)
	s_or_b32 exec_lo, exec_lo, s3
                                        ; implicit-def: $vgpr115
.LBB0_265:
	s_and_not1_saveexec_b32 s3, s9
	s_cbranch_execz .LBB0_368
; %bb.266:
	v_add_f32_e32 v16, -4.0, v115
                                        ; implicit-def: $vgpr116
                                        ; implicit-def: $vgpr15
                                        ; implicit-def: $vgpr14
                                        ; implicit-def: $vgpr13
	s_mov_b32 s0, exec_lo
	v_cmpx_lt_i32_e32 0, v64
	s_xor_b32 s9, exec_lo, s0
                                        ; implicit-def: $vgpr0_vgpr1_vgpr2_vgpr3_vgpr4_vgpr5_vgpr6
                                        ; implicit-def: $vgpr6_vgpr7_vgpr8_vgpr9_vgpr10_vgpr11_vgpr12
	s_cbranch_execz .LBB0_274
; %bb.267:
                                        ; implicit-def: $vgpr116
                                        ; implicit-def: $vgpr15
                                        ; implicit-def: $vgpr14
                                        ; implicit-def: $vgpr13
	s_mov_b32 s0, exec_lo
	v_cmpx_lt_i32_e32 1, v64
	s_xor_b32 s10, exec_lo, s0
                                        ; implicit-def: $vgpr0_vgpr1_vgpr2_vgpr3_vgpr4_vgpr5_vgpr6
                                        ; implicit-def: $vgpr6_vgpr7_vgpr8_vgpr9_vgpr10_vgpr11_vgpr12
	s_cbranch_execz .LBB0_271
; %bb.268:
	v_dual_mov_b32 v116, 0 :: v_dual_mov_b32 v15, 0
	v_dual_mov_b32 v14, 0 :: v_dual_mov_b32 v13, 0
	;; [unrolled: 1-line block ×3, first 2 shown]
	s_mov_b32 s11, exec_lo
	v_cmpx_eq_u32_e32 2, v64
	s_cbranch_execz .LBB0_270
; %bb.269:
	v_mul_f32_e32 v3, 0xbfb8aa3b, v115
	s_mov_b32 s0, 0x2d7dcb80
	v_cmp_nlt_f32_e32 vcc_lo, 0x42ce8ed0, v115
	s_mov_b32 s1, 0xadd04817
	s_delay_alu instid0(SALU_CYCLE_1)
	v_fmaak_f32 v1, s1, v16, 0x2f9ef5e4
	v_rndne_f32_e32 v5, v3
	v_fma_f32 v6, 0xbfb8aa3b, v115, -v3
	v_fmaak_f32 v0, s0, v16, 0xb000439b
	s_mov_b32 s0, 0xade98f26
	s_mov_b32 s1, 0xafd7f66f
	v_sub_f32_e32 v3, v3, v5
	v_fmamk_f32 v6, v115, 0xb2a5705f, v6
	v_fmaak_f32 v2, s0, v16, 0x2f59351d
	v_cvt_i32_f32_e32 v5, v5
	s_delay_alu instid0(VALU_DEP_3) | instskip(NEXT) | instid1(VALU_DEP_1)
	v_dual_fmaak_f32 v4, s1, v16, 0xb18f14fa :: v_dual_add_f32 v3, v3, v6
	v_fmaak_f32 v4, v16, v4, 0x333e03d4
	s_delay_alu instid0(VALU_DEP_2) | instskip(NEXT) | instid1(VALU_DEP_1)
	v_exp_f32_e32 v3, v3
	v_fmaak_f32 v4, v16, v4, 0x352bf3f3
	s_delay_alu instid0(VALU_DEP_1) | instskip(SKIP_3) | instid1(VALU_DEP_2)
	v_fmaak_f32 v4, v16, v4, 0xb64d06a4
	s_waitcnt_depctr 0xfff
	v_ldexp_f32 v3, v3, v5
	v_fmaak_f32 v0, v16, v0, 0x32036958
	v_dual_fmaak_f32 v4, v16, v4, 0xb8dcd299 :: v_dual_cndmask_b32 v3, 0, v3
	s_delay_alu instid0(VALU_DEP_2) | instskip(SKIP_1) | instid1(VALU_DEP_3)
	v_fmaak_f32 v0, v16, v0, 0xb4041055
	v_cmp_ngt_f32_e32 vcc_lo, 0xc2b17218, v115
	v_fmaak_f32 v4, v16, v4, 0xba20fcf6
	s_delay_alu instid0(VALU_DEP_3) | instskip(NEXT) | instid1(VALU_DEP_2)
	v_fmaak_f32 v0, v16, v0, 0x3607f674
	v_fmaak_f32 v4, v16, v4, 0x3d48912e
	s_delay_alu instid0(VALU_DEP_2) | instskip(NEXT) | instid1(VALU_DEP_1)
	v_fmaak_f32 v0, v16, v0, 0xb7f0cb3c
	v_fmaak_f32 v0, v16, v0, 0x39c22871
	s_delay_alu instid0(VALU_DEP_1) | instskip(NEXT) | instid1(VALU_DEP_1)
	v_fmaak_f32 v0, v16, v0, 0xbb89f492
	v_fmaak_f32 v0, v16, v0, 0x3d0fba5f
	s_delay_alu instid0(VALU_DEP_1) | instskip(NEXT) | instid1(VALU_DEP_1)
	v_dual_fmaak_f32 v2, v16, v2, 0x31146a0b :: v_dual_add_f32 v5, 1.0, v0
	v_div_scale_f32 v18, s0, v0, v5, v0
	s_delay_alu instid0(VALU_DEP_2) | instskip(SKIP_1) | instid1(VALU_DEP_2)
	v_fmaak_f32 v2, v16, v2, 0xb3aabc19
	v_div_scale_f32 v8, null, v5, v5, v0
	v_fmaak_f32 v2, v16, v2, 0x350a4009
	s_delay_alu instid0(VALU_DEP_2) | instskip(NEXT) | instid1(VALU_DEP_1)
	v_rcp_f32_e32 v12, v8
	v_fmaak_f32 v2, v16, v2, 0x373b8ce3
	s_delay_alu instid0(VALU_DEP_1) | instskip(SKIP_3) | instid1(VALU_DEP_2)
	v_fmaak_f32 v2, v16, v2, 0xb9aef9bb
	s_waitcnt_depctr 0xfff
	v_fma_f32 v19, -v8, v12, 1.0
	v_fmaak_f32 v2, v16, v2, 0x3badde13
	v_fmac_f32_e32 v12, v19, v12
	s_delay_alu instid0(VALU_DEP_2) | instskip(NEXT) | instid1(VALU_DEP_1)
	v_fmaak_f32 v2, v16, v2, 0xbd73173b
	v_fmaak_f32 v7, v16, v2, 0x3edcc3b2
	v_fmaak_f32 v2, v16, v4, 0xbf1fdf20
	v_dual_add_f32 v4, v115, v115 :: v_dual_fmaak_f32 v1, v16, v1, 0xb15a9abc
	s_delay_alu instid0(VALU_DEP_2) | instskip(NEXT) | instid1(VALU_DEP_2)
	v_dual_fmaak_f32 v13, v16, v2, 0x40574dcb :: v_dual_add_f32 v2, 1.0, v7
	v_fmaak_f32 v1, v16, v1, 0x330bbb29
	s_delay_alu instid0(VALU_DEP_2) | instskip(NEXT) | instid1(VALU_DEP_3)
	v_add_f32_e32 v10, 1.0, v13
	v_div_scale_f32 v9, null, v2, v2, v7
	s_delay_alu instid0(VALU_DEP_3) | instskip(NEXT) | instid1(VALU_DEP_3)
	v_fmaak_f32 v1, v16, v1, 0xb4a187c8
	v_div_scale_f32 v15, null, v10, v10, v13
	s_delay_alu instid0(VALU_DEP_3) | instskip(NEXT) | instid1(VALU_DEP_1)
	v_rcp_f32_e32 v14, v9
	v_rcp_f32_e32 v17, v15
	s_waitcnt_depctr 0xfff
	v_fma_f32 v20, -v9, v14, 1.0
	v_cndmask_b32_e32 v3, 0x7f800000, v3, vcc_lo
	v_fma_f32 v19, -v15, v17, 1.0
	s_delay_alu instid0(VALU_DEP_3) | instskip(SKIP_1) | instid1(VALU_DEP_3)
	v_fmac_f32_e32 v14, v20, v14
	v_div_scale_f32 v20, s1, v7, v2, v7
	v_fmac_f32_e32 v17, v19, v17
	v_div_scale_f32 v19, s2, v13, v10, v13
	s_delay_alu instid0(VALU_DEP_1) | instskip(NEXT) | instid1(VALU_DEP_1)
	v_dual_mul_f32 v24, v20, v14 :: v_dual_mul_f32 v25, v19, v17
	v_fma_f32 v117, -v9, v24, v20
	v_fmaak_f32 v1, v16, v1, 0x3626eec8
	s_delay_alu instid0(VALU_DEP_3) | instskip(NEXT) | instid1(VALU_DEP_2)
	v_fma_f32 v118, -v15, v25, v19
	v_dual_fmac_f32 v24, v117, v14 :: v_dual_fmaak_f32 v1, v16, v1, 0xb798214c
	s_delay_alu instid0(VALU_DEP_2) | instskip(NEXT) | instid1(VALU_DEP_2)
	v_fmac_f32_e32 v25, v118, v17
	v_fma_f32 v9, -v9, v24, v20
	s_delay_alu instid0(VALU_DEP_3) | instskip(NEXT) | instid1(VALU_DEP_3)
	v_fmaak_f32 v1, v16, v1, 0x38f02260
	v_fma_f32 v15, -v15, v25, v19
	s_delay_alu instid0(VALU_DEP_2) | instskip(NEXT) | instid1(VALU_DEP_1)
	v_fmaak_f32 v1, v16, v1, 0xba2011ae
	v_fmaak_f32 v1, v16, v1, 0x3b2d65dd
	s_delay_alu instid0(VALU_DEP_1) | instskip(NEXT) | instid1(VALU_DEP_1)
	v_fmaak_f32 v1, v16, v1, 0xbc0df41e
	v_fmaak_f32 v1, v16, v1, 0x3c8f923b
	s_delay_alu instid0(VALU_DEP_1) | instskip(NEXT) | instid1(VALU_DEP_1)
	v_fma_f32 v6, v4, v1, v3
	v_div_scale_f32 v11, null, 0x40400000, 0x40400000, v6
	v_div_scale_f32 v22, vcc_lo, v6, 0x40400000, v6
	s_delay_alu instid0(VALU_DEP_2) | instskip(SKIP_2) | instid1(VALU_DEP_1)
	v_rcp_f32_e32 v16, v11
	s_waitcnt_depctr 0xfff
	v_fma_f32 v21, -v11, v16, 1.0
	v_fmac_f32_e32 v16, v21, v16
	v_mul_f32_e32 v21, v18, v12
	s_delay_alu instid0(VALU_DEP_2) | instskip(NEXT) | instid1(VALU_DEP_2)
	v_mul_f32_e32 v23, v22, v16
	v_fma_f32 v115, -v8, v21, v18
	s_delay_alu instid0(VALU_DEP_2) | instskip(NEXT) | instid1(VALU_DEP_2)
	v_fma_f32 v116, -v11, v23, v22
	v_fmac_f32_e32 v21, v115, v12
	s_delay_alu instid0(VALU_DEP_2) | instskip(NEXT) | instid1(VALU_DEP_2)
	v_fmac_f32_e32 v23, v116, v16
	v_fma_f32 v8, -v8, v21, v18
	s_delay_alu instid0(VALU_DEP_2) | instskip(NEXT) | instid1(VALU_DEP_1)
	v_fma_f32 v11, -v11, v23, v22
	v_div_fmas_f32 v11, v11, v16, v23
	s_mov_b32 vcc_lo, s0
	s_delay_alu instid0(VALU_DEP_3) | instskip(SKIP_1) | instid1(VALU_DEP_2)
	v_div_fmas_f32 v8, v8, v12, v21
	s_mov_b32 vcc_lo, s1
	v_div_fixup_f32 v6, v11, 0x40400000, v6
	v_div_fmas_f32 v9, v9, v14, v24
	s_mov_b32 vcc_lo, s2
	v_div_fixup_f32 v5, v8, v5, v0
	v_div_fmas_f32 v11, v15, v17, v25
	v_fmac_f32_e32 v3, v4, v6
	v_div_fixup_f32 v2, v9, v2, v7
	s_delay_alu instid0(VALU_DEP_4) | instskip(NEXT) | instid1(VALU_DEP_4)
	v_fma_f32 v1, -v5, v6, v1
	v_div_fixup_f32 v4, v11, v10, v13
	s_delay_alu instid0(VALU_DEP_4) | instskip(NEXT) | instid1(VALU_DEP_2)
	v_fma_f32 v6, -v5, v3, v6
	v_sub_f32_e32 v8, v4, v2
	v_sub_f32_e32 v9, v4, v5
	v_sub_f32_e32 v5, v2, v5
	s_delay_alu instid0(VALU_DEP_4) | instskip(SKIP_1) | instid1(VALU_DEP_4)
	v_fma_f32 v2, -v2, v6, v1
	v_fma_f32 v1, v4, v6, -v1
	v_mul_f32_e32 v9, v8, v9
	s_delay_alu instid0(VALU_DEP_4) | instskip(NEXT) | instid1(VALU_DEP_2)
	v_mul_f32_e32 v4, v8, v5
	v_div_scale_f32 v5, null, v9, v9, v2
	s_delay_alu instid0(VALU_DEP_2) | instskip(SKIP_1) | instid1(VALU_DEP_3)
	v_div_scale_f32 v6, null, v4, v4, v1
	v_div_scale_f32 v14, vcc_lo, v2, v9, v2
	v_rcp_f32_e32 v8, v5
	s_delay_alu instid0(VALU_DEP_2) | instskip(SKIP_3) | instid1(VALU_DEP_2)
	v_rcp_f32_e32 v10, v6
	s_waitcnt_depctr 0xfff
	v_fma_f32 v11, -v5, v8, 1.0
	v_fma_f32 v12, -v6, v10, 1.0
	v_fmac_f32_e32 v8, v11, v8
	v_div_scale_f32 v11, s0, v1, v4, v1
	s_delay_alu instid0(VALU_DEP_3) | instskip(NEXT) | instid1(VALU_DEP_1)
	v_fmac_f32_e32 v10, v12, v10
	v_dual_mul_f32 v12, v14, v8 :: v_dual_mul_f32 v15, v11, v10
	s_delay_alu instid0(VALU_DEP_1) | instskip(NEXT) | instid1(VALU_DEP_2)
	v_fma_f32 v16, -v5, v12, v14
	v_fma_f32 v17, -v6, v15, v11
	s_delay_alu instid0(VALU_DEP_1) | instskip(NEXT) | instid1(VALU_DEP_1)
	v_dual_fmac_f32 v12, v16, v8 :: v_dual_fmac_f32 v15, v17, v10
	v_fma_f32 v5, -v5, v12, v14
	s_delay_alu instid0(VALU_DEP_2) | instskip(NEXT) | instid1(VALU_DEP_2)
	v_fma_f32 v6, -v6, v15, v11
	v_div_fmas_f32 v5, v5, v8, v12
	s_mov_b32 vcc_lo, s0
	s_delay_alu instid0(VALU_DEP_2) | instskip(NEXT) | instid1(VALU_DEP_2)
	v_div_fmas_f32 v6, v6, v10, v15
	v_div_fixup_f32 v116, v5, v9, v2
	s_delay_alu instid0(VALU_DEP_2) | instskip(NEXT) | instid1(VALU_DEP_1)
	v_div_fixup_f32 v15, v6, v4, v1
	v_sub_f32_e32 v1, v3, v15
	s_delay_alu instid0(VALU_DEP_1)
	v_sub_f32_e32 v14, v1, v116
.LBB0_270:
	s_or_b32 exec_lo, exec_lo, s11
                                        ; implicit-def: $vgpr16
                                        ; implicit-def: $vgpr115
.LBB0_271:
	s_and_not1_saveexec_b32 s0, s10
	s_cbranch_execz .LBB0_273
; %bb.272:
	v_mul_f32_e32 v1, 0xbfb8aa3b, v115
	s_mov_b32 s1, 0xade6db4a
	s_mov_b32 s2, 0xac90ce0a
	v_cmp_nlt_f32_e32 vcc_lo, 0x42ce8ed0, v115
	v_fmaak_f32 v5, s2, v16, 0x2e9c54b0
	v_rndne_f32_e32 v3, v1
	v_fmaak_f32 v0, s1, v16, 0x2fb22351
	s_mov_b32 s1, 0xaf4685e4
	v_fma_f32 v4, 0xbfb8aa3b, v115, -v1
	s_delay_alu instid0(VALU_DEP_3) | instskip(NEXT) | instid1(VALU_DEP_3)
	v_dual_fmaak_f32 v2, s1, v16, 0x30158db2 :: v_dual_sub_f32 v1, v1, v3
	v_dual_mov_b32 v13, 0 :: v_dual_fmaak_f32 v0, v16, v0, 0xb1786b26
	s_delay_alu instid0(VALU_DEP_3) | instskip(NEXT) | instid1(VALU_DEP_3)
	v_fmamk_f32 v4, v115, 0xb2a5705f, v4
	v_fmaak_f32 v2, v16, v2, 0x3289bd4b
	v_cvt_i32_f32_e32 v3, v3
	s_delay_alu instid0(VALU_DEP_3) | instskip(NEXT) | instid1(VALU_DEP_3)
	v_dual_mov_b32 v116, 0 :: v_dual_add_f32 v1, v1, v4
	v_fmaak_f32 v2, v16, v2, 0xb420d855
	s_delay_alu instid0(VALU_DEP_2) | instskip(NEXT) | instid1(VALU_DEP_1)
	v_exp_f32_e32 v1, v1
	v_fmaak_f32 v2, v16, v2, 0xb53c5c79
	s_delay_alu instid0(VALU_DEP_1) | instskip(SKIP_2) | instid1(VALU_DEP_1)
	v_fmaak_f32 v2, v16, v2, 0x379bedff
	s_waitcnt_depctr 0xfff
	v_ldexp_f32 v1, v1, v3
	v_dual_fmaak_f32 v2, v16, v2, 0xb7abb3dc :: v_dual_cndmask_b32 v1, 0, v1
	s_delay_alu instid0(VALU_DEP_1) | instskip(SKIP_1) | instid1(VALU_DEP_2)
	v_fmaak_f32 v2, v16, v2, 0xbb236640
	v_cmp_ngt_f32_e32 vcc_lo, 0xc2b17218, v115
	v_fmaak_f32 v2, v16, v2, 0x3d120b0d
	s_delay_alu instid0(VALU_DEP_4) | instskip(NEXT) | instid1(VALU_DEP_2)
	v_cndmask_b32_e32 v1, 0x7f800000, v1, vcc_lo
	v_fmaak_f32 v2, v16, v2, 0xbe85556f
	s_delay_alu instid0(VALU_DEP_1) | instskip(SKIP_1) | instid1(VALU_DEP_1)
	v_fmaak_f32 v7, v16, v2, 0x3f8f8f0b
	v_fmaak_f32 v5, v16, v5, 0xb0ee7801
	v_dual_fmaak_f32 v4, v16, v5, 0x337eb864 :: v_dual_add_f32 v5, v115, v115
	v_fmaak_f32 v0, v16, v0, 0x33218076
	s_delay_alu instid0(VALU_DEP_2) | instskip(NEXT) | instid1(VALU_DEP_2)
	v_fmaak_f32 v4, v16, v4, 0xb583020c
	v_fmaak_f32 v0, v16, v0, 0xb4bec7bc
	s_delay_alu instid0(VALU_DEP_2) | instskip(NEXT) | instid1(VALU_DEP_2)
	v_fmaak_f32 v4, v16, v4, 0x373601b0
	;; [unrolled: 3-line block ×4, first 2 shown]
	v_fmaak_f32 v0, v16, v0, 0x392011ae
	s_delay_alu instid0(VALU_DEP_1) | instskip(NEXT) | instid1(VALU_DEP_1)
	v_fmaak_f32 v0, v16, v0, 0xba67327d
	v_fmaak_f32 v0, v16, v0, 0x3b8df41e
	s_delay_alu instid0(VALU_DEP_1) | instskip(NEXT) | instid1(VALU_DEP_1)
	v_fmaak_f32 v0, v16, v0, 0xbc8f923b
	v_fmaak_f32 v4, v16, v0, 0x3d586f6b
	;; [unrolled: 1-line block ×3, first 2 shown]
	v_add_f32_e32 v3, 1.0, v7
	s_delay_alu instid0(VALU_DEP_3) | instskip(NEXT) | instid1(VALU_DEP_3)
	v_fmac_f32_e32 v1, v5, v4
	v_fmaak_f32 v0, v16, v0, 0x3d7aeab0
	s_delay_alu instid0(VALU_DEP_2) | instskip(NEXT) | instid1(VALU_DEP_1)
	v_sub_f32_e32 v2, v4, v1
	v_fmac_f32_e32 v4, v0, v2
	v_sub_f32_e32 v2, v7, v0
	s_delay_alu instid0(VALU_DEP_2) | instskip(NEXT) | instid1(VALU_DEP_1)
	v_mul_f32_e32 v3, v3, v4
	v_div_scale_f32 v4, null, v2, v2, v3
	v_div_scale_f32 v8, vcc_lo, v3, v2, v3
	s_delay_alu instid0(VALU_DEP_2) | instskip(SKIP_2) | instid1(VALU_DEP_1)
	v_rcp_f32_e32 v5, v4
	s_waitcnt_depctr 0xfff
	v_fma_f32 v6, -v4, v5, 1.0
	v_fmac_f32_e32 v5, v6, v5
	s_delay_alu instid0(VALU_DEP_1) | instskip(NEXT) | instid1(VALU_DEP_1)
	v_mul_f32_e32 v6, v8, v5
	v_fma_f32 v9, -v4, v6, v8
	s_delay_alu instid0(VALU_DEP_1) | instskip(NEXT) | instid1(VALU_DEP_1)
	v_fmac_f32_e32 v6, v9, v5
	v_fma_f32 v4, -v4, v6, v8
	s_delay_alu instid0(VALU_DEP_1) | instskip(NEXT) | instid1(VALU_DEP_1)
	v_div_fmas_f32 v4, v4, v5, v6
	v_div_fixup_f32 v15, v4, v2, v3
	s_delay_alu instid0(VALU_DEP_1)
	v_sub_f32_e32 v14, v1, v15
.LBB0_273:
	s_or_b32 exec_lo, exec_lo, s0
                                        ; implicit-def: $vgpr16
                                        ; implicit-def: $vgpr115
.LBB0_274:
	s_and_not1_saveexec_b32 s0, s9
	s_cbranch_execz .LBB0_278
; %bb.275:
	v_mov_b32_e32 v116, 0
	v_mov_b32_e32 v14, 0
	;; [unrolled: 1-line block ×3, first 2 shown]
	s_mov_b32 s1, exec_lo
	v_cmpx_eq_u32_e32 0, v64
	s_cbranch_execz .LBB0_277
; %bb.276:
	v_mul_f32_e32 v1, 0xbfb8aa3b, v115
	s_mov_b32 s2, 0xade6db4a
	v_cmp_nlt_f32_e32 vcc_lo, 0x42ce8ed0, v115
	s_delay_alu instid0(VALU_DEP_2) | instskip(SKIP_1) | instid1(VALU_DEP_2)
	v_rndne_f32_e32 v2, v1
	v_fma_f32 v3, 0xbfb8aa3b, v115, -v1
	v_dual_fmaak_f32 v0, s2, v16, 0x2fb22351 :: v_dual_sub_f32 v1, v1, v2
	s_delay_alu instid0(VALU_DEP_2) | instskip(NEXT) | instid1(VALU_DEP_2)
	v_fmamk_f32 v3, v115, 0xb2a5705f, v3
	v_fmaak_f32 v0, v16, v0, 0xb1786b26
	v_cvt_i32_f32_e32 v2, v2
	s_delay_alu instid0(VALU_DEP_3) | instskip(NEXT) | instid1(VALU_DEP_1)
	v_add_f32_e32 v1, v1, v3
	v_exp_f32_e32 v1, v1
	s_waitcnt_depctr 0xfff
	v_ldexp_f32 v1, v1, v2
	s_delay_alu instid0(VALU_DEP_1) | instskip(NEXT) | instid1(VALU_DEP_1)
	v_dual_fmaak_f32 v0, v16, v0, 0x33218076 :: v_dual_cndmask_b32 v1, 0, v1
	v_fmaak_f32 v0, v16, v0, 0xb4bec7bc
	v_cmp_ngt_f32_e32 vcc_lo, 0xc2b17218, v115
	s_delay_alu instid0(VALU_DEP_2) | instskip(NEXT) | instid1(VALU_DEP_4)
	v_fmaak_f32 v0, v16, v0, 0x364ad720
	v_cndmask_b32_e32 v14, 0x7f800000, v1, vcc_lo
	s_delay_alu instid0(VALU_DEP_2) | instskip(NEXT) | instid1(VALU_DEP_1)
	v_fmaak_f32 v0, v16, v0, 0xb7c01b80
	v_fmaak_f32 v0, v16, v0, 0x392011ae
	s_delay_alu instid0(VALU_DEP_1) | instskip(NEXT) | instid1(VALU_DEP_1)
	v_fmaak_f32 v0, v16, v0, 0xba67327d
	v_fmaak_f32 v0, v16, v0, 0x3b8df41e
	s_delay_alu instid0(VALU_DEP_1) | instskip(NEXT) | instid1(VALU_DEP_1)
	v_fmaak_f32 v0, v16, v0, 0xbc8f923b
	v_fmaak_f32 v0, v16, v0, 0x3d586f6b
	v_add_f32_e32 v2, v115, v115
	s_delay_alu instid0(VALU_DEP_1) | instskip(NEXT) | instid1(VALU_DEP_1)
	v_fmac_f32_e32 v14, v2, v0
	v_sub_f32_e32 v1, v14, v0
	s_delay_alu instid0(VALU_DEP_1) | instskip(NEXT) | instid1(VALU_DEP_1)
	v_div_scale_f32 v2, null, v1, v1, v0
	v_rcp_f32_e32 v3, v2
	s_waitcnt_depctr 0xfff
	v_fma_f32 v4, -v2, v3, 1.0
	s_delay_alu instid0(VALU_DEP_1) | instskip(SKIP_1) | instid1(VALU_DEP_1)
	v_fmac_f32_e32 v3, v4, v3
	v_div_scale_f32 v4, vcc_lo, v0, v1, v0
	v_mul_f32_e32 v5, v4, v3
	s_delay_alu instid0(VALU_DEP_1) | instskip(NEXT) | instid1(VALU_DEP_1)
	v_fma_f32 v6, -v2, v5, v4
	v_fmac_f32_e32 v5, v6, v3
	s_delay_alu instid0(VALU_DEP_1) | instskip(NEXT) | instid1(VALU_DEP_1)
	v_fma_f32 v2, -v2, v5, v4
	v_div_fmas_f32 v2, v2, v3, v5
	s_delay_alu instid0(VALU_DEP_1)
	v_div_fixup_f32 v0, v2, v1, v0
.LBB0_277:
	s_or_b32 exec_lo, exec_lo, s1
	v_mov_b32_e32 v15, 0
	v_mov_b32_e32 v13, 0
	;; [unrolled: 1-line block ×3, first 2 shown]
.LBB0_278:
	s_or_b32 exec_lo, exec_lo, s0
	s_delay_alu instid0(SALU_CYCLE_1)
	s_or_b32 exec_lo, exec_lo, s3
                                        ; implicit-def: $vgpr115
.LBB0_279:
	s_and_not1_saveexec_b32 s3, s8
	s_cbranch_execz .LBB0_369
.LBB0_280:
	v_add_f32_e32 v16, -2.0, v115
                                        ; implicit-def: $vgpr116
                                        ; implicit-def: $vgpr15
                                        ; implicit-def: $vgpr14
                                        ; implicit-def: $vgpr13
	s_mov_b32 s0, exec_lo
	v_cmpx_lt_i32_e32 0, v64
	s_xor_b32 s8, exec_lo, s0
                                        ; implicit-def: $vgpr0_vgpr1_vgpr2_vgpr3_vgpr4_vgpr5_vgpr6
                                        ; implicit-def: $vgpr6_vgpr7_vgpr8_vgpr9_vgpr10_vgpr11_vgpr12
	s_cbranch_execz .LBB0_288
; %bb.281:
                                        ; implicit-def: $vgpr116
                                        ; implicit-def: $vgpr15
                                        ; implicit-def: $vgpr14
                                        ; implicit-def: $vgpr13
	s_mov_b32 s0, exec_lo
	v_cmpx_lt_i32_e32 1, v64
	s_xor_b32 s9, exec_lo, s0
                                        ; implicit-def: $vgpr0_vgpr1_vgpr2_vgpr3_vgpr4_vgpr5_vgpr6
                                        ; implicit-def: $vgpr6_vgpr7_vgpr8_vgpr9_vgpr10_vgpr11_vgpr12
	s_cbranch_execz .LBB0_285
; %bb.282:
	v_dual_mov_b32 v116, 0 :: v_dual_mov_b32 v15, 0
	v_dual_mov_b32 v14, 0 :: v_dual_mov_b32 v13, 0
	;; [unrolled: 1-line block ×3, first 2 shown]
	s_mov_b32 s10, exec_lo
	v_cmpx_eq_u32_e32 2, v64
	s_cbranch_execz .LBB0_284
; %bb.283:
	v_mul_f32_e32 v2, 0xbfb8aa3b, v115
	s_mov_b32 s0, 0x2bcba156
	s_mov_b32 s1, 0xaf22c6bf
	v_fmaak_f32 v0, s0, v16, 0x2caabff3
	s_mov_b32 s0, 0x303f4e21
	v_rndne_f32_e32 v5, v2
	v_fmaak_f32 v1, s1, v16, 0x30f4db6f
	s_mov_b32 s1, 0xaf9ac11f
	v_fmaak_f32 v3, s0, v16, 0xb1b7ebe3
	v_fmaak_f32 v4, s1, v16, 0x31781e01
	v_fma_f32 v6, 0xbfb8aa3b, v115, -v2
	v_sub_f32_e32 v2, v2, v5
	v_cvt_i32_f32_e32 v5, v5
	v_fmaak_f32 v3, v16, v3, 0xb390da29
	v_fmaak_f32 v4, v16, v4, 0x3342d558
	v_fmamk_f32 v6, v115, 0xb2a5705f, v6
	v_fmaak_f32 v1, v16, v1, 0xb2a55e4f
	v_cmp_nlt_f32_e32 vcc_lo, 0x42ce8ed0, v115
	v_fmaak_f32 v3, v16, v3, 0x35c9a4ee
	v_fmaak_f32 v4, v16, v4, 0xb4175e0b
	s_delay_alu instid0(VALU_DEP_2) | instskip(NEXT) | instid1(VALU_DEP_2)
	v_dual_add_f32 v2, v2, v6 :: v_dual_fmaak_f32 v3, v16, v3, 0x3585304b
	v_fmaak_f32 v4, v16, v4, 0xb6cb4b75
	s_delay_alu instid0(VALU_DEP_2) | instskip(NEXT) | instid1(VALU_DEP_2)
	v_exp_f32_e32 v2, v2
	v_fmaak_f32 v3, v16, v3, 0xb9cc067d
	s_delay_alu instid0(VALU_DEP_2) | instskip(NEXT) | instid1(VALU_DEP_2)
	v_fmaak_f32 v4, v16, v4, 0xb8586938
	v_fmaak_f32 v3, v16, v3, 0x3bf64487
	s_delay_alu instid0(VALU_DEP_2)
	v_fmaak_f32 v4, v16, v4, 0x380c68c0
	s_waitcnt_depctr 0xfff
	v_ldexp_f32 v2, v2, v5
	v_fmaak_f32 v1, v16, v1, 0x344f05bc
	v_fmaak_f32 v3, v16, v3, 0xbdadd46b
	;; [unrolled: 1-line block ×3, first 2 shown]
	s_delay_alu instid0(VALU_DEP_4) | instskip(SKIP_1) | instid1(VALU_DEP_4)
	v_cndmask_b32_e32 v2, 0, v2, vcc_lo
	v_cmp_ngt_f32_e32 vcc_lo, 0xc2b17218, v115
	v_fmaak_f32 v7, v16, v3, 0x3f12ecf6
	s_delay_alu instid0(VALU_DEP_4) | instskip(NEXT) | instid1(VALU_DEP_4)
	v_dual_fmaak_f32 v3, v16, v4, 0xbf532020 :: v_dual_add_f32 v4, v115, v115
	v_cndmask_b32_e32 v2, 0x7f800000, v2, vcc_lo
	s_delay_alu instid0(VALU_DEP_2) | instskip(NEXT) | instid1(VALU_DEP_1)
	v_fmaak_f32 v13, v16, v3, 0x4099febe
	v_dual_add_f32 v3, 1.0, v7 :: v_dual_add_f32 v10, 1.0, v13
	s_delay_alu instid0(VALU_DEP_1) | instskip(NEXT) | instid1(VALU_DEP_2)
	v_div_scale_f32 v9, null, v3, v3, v7
	v_div_scale_f32 v15, null, v10, v10, v13
	s_delay_alu instid0(VALU_DEP_2) | instskip(NEXT) | instid1(VALU_DEP_1)
	v_rcp_f32_e32 v14, v9
	v_rcp_f32_e32 v17, v15
	s_waitcnt_depctr 0xfff
	v_fma_f32 v19, -v9, v14, 1.0
	s_delay_alu instid0(VALU_DEP_1) | instskip(SKIP_1) | instid1(VALU_DEP_1)
	v_dual_fmaak_f32 v1, v16, v1, 0xb5e9477a :: v_dual_fmac_f32 v14, v19, v14
	v_fma_f32 v19, -v15, v17, 1.0
	v_dual_fmaak_f32 v0, v16, v0, 0xb0341271 :: v_dual_fmac_f32 v17, v19, v17
	v_div_scale_f32 v19, s2, v13, v10, v13
	s_delay_alu instid0(VALU_DEP_1) | instskip(NEXT) | instid1(VALU_DEP_1)
	v_dual_fmaak_f32 v0, v16, v0, 0x32868327 :: v_dual_mul_f32 v25, v19, v17
	v_fma_f32 v118, -v15, v25, v19
	s_delay_alu instid0(VALU_DEP_1) | instskip(NEXT) | instid1(VALU_DEP_1)
	v_dual_fmaak_f32 v0, v16, v0, 0xb48ba6f7 :: v_dual_fmac_f32 v25, v118, v17
	v_fmaak_f32 v0, v16, v0, 0x36818f53
	s_delay_alu instid0(VALU_DEP_2) | instskip(NEXT) | instid1(VALU_DEP_2)
	v_fma_f32 v15, -v15, v25, v19
	v_fmaak_f32 v0, v16, v0, 0xb857593b
	s_delay_alu instid0(VALU_DEP_1) | instskip(NEXT) | instid1(VALU_DEP_1)
	v_fmaak_f32 v0, v16, v0, 0x3a1e1fb3
	v_fmaak_f32 v0, v16, v0, 0xbbc848cc
	s_delay_alu instid0(VALU_DEP_1) | instskip(NEXT) | instid1(VALU_DEP_1)
	v_fmaak_f32 v0, v16, v0, 0x3d396045
	v_add_f32_e32 v5, 1.0, v0
	s_delay_alu instid0(VALU_DEP_1) | instskip(SKIP_1) | instid1(VALU_DEP_2)
	v_div_scale_f32 v8, null, v5, v5, v0
	v_div_scale_f32 v18, s0, v0, v5, v0
	v_rcp_f32_e32 v12, v8
	s_waitcnt_depctr 0xfff
	v_fma_f32 v20, -v8, v12, 1.0
	s_delay_alu instid0(VALU_DEP_1) | instskip(SKIP_2) | instid1(VALU_DEP_2)
	v_fmac_f32_e32 v12, v20, v12
	v_fmaak_f32 v1, v16, v1, 0x376987df
	v_div_scale_f32 v20, s1, v7, v3, v7
	v_dual_mul_f32 v24, v18, v12 :: v_dual_fmaak_f32 v1, v16, v1, 0xb8cc6214
	s_delay_alu instid0(VALU_DEP_1) | instskip(NEXT) | instid1(VALU_DEP_1)
	v_fma_f32 v117, -v8, v24, v18
	v_dual_fmaak_f32 v1, v16, v1, 0x3a19038b :: v_dual_fmac_f32 v24, v117, v12
	s_delay_alu instid0(VALU_DEP_1) | instskip(NEXT) | instid1(VALU_DEP_2)
	v_fmaak_f32 v1, v16, v1, 0xbb3e0676
	v_fma_f32 v8, -v8, v24, v18
	s_delay_alu instid0(VALU_DEP_2) | instskip(NEXT) | instid1(VALU_DEP_1)
	v_fmaak_f32 v1, v16, v1, 0x3c3a86e5
	v_fmaak_f32 v1, v16, v1, 0xbd047be0
	s_delay_alu instid0(VALU_DEP_1) | instskip(NEXT) | instid1(VALU_DEP_1)
	v_fmaak_f32 v1, v16, v1, 0x3d58da91
	v_fma_f32 v6, v4, v1, v2
	s_delay_alu instid0(VALU_DEP_1) | instskip(SKIP_1) | instid1(VALU_DEP_2)
	v_div_scale_f32 v11, null, 0x40400000, 0x40400000, v6
	v_div_scale_f32 v22, vcc_lo, v6, 0x40400000, v6
	v_rcp_f32_e32 v16, v11
	s_waitcnt_depctr 0xfff
	v_fma_f32 v21, -v11, v16, 1.0
	s_delay_alu instid0(VALU_DEP_1) | instskip(NEXT) | instid1(VALU_DEP_1)
	v_dual_fmac_f32 v16, v21, v16 :: v_dual_mul_f32 v21, v20, v14
	v_mul_f32_e32 v23, v22, v16
	s_delay_alu instid0(VALU_DEP_2) | instskip(NEXT) | instid1(VALU_DEP_2)
	v_fma_f32 v115, -v9, v21, v20
	v_fma_f32 v116, -v11, v23, v22
	s_delay_alu instid0(VALU_DEP_2) | instskip(NEXT) | instid1(VALU_DEP_2)
	v_fmac_f32_e32 v21, v115, v14
	v_fmac_f32_e32 v23, v116, v16
	s_delay_alu instid0(VALU_DEP_2) | instskip(NEXT) | instid1(VALU_DEP_2)
	v_fma_f32 v9, -v9, v21, v20
	v_fma_f32 v11, -v11, v23, v22
	s_delay_alu instid0(VALU_DEP_1) | instskip(SKIP_3) | instid1(VALU_DEP_2)
	v_div_fmas_f32 v11, v11, v16, v23
	s_mov_b32 vcc_lo, s0
	v_div_fmas_f32 v8, v8, v12, v24
	s_mov_b32 vcc_lo, s1
	v_div_fixup_f32 v6, v11, 0x40400000, v6
	v_div_fmas_f32 v9, v9, v14, v21
	s_mov_b32 vcc_lo, s2
	v_div_fixup_f32 v5, v8, v5, v0
	v_div_fmas_f32 v11, v15, v17, v25
	v_fmac_f32_e32 v2, v4, v6
	v_div_fixup_f32 v3, v9, v3, v7
	s_delay_alu instid0(VALU_DEP_4) | instskip(NEXT) | instid1(VALU_DEP_4)
	v_fma_f32 v1, -v5, v6, v1
	v_div_fixup_f32 v4, v11, v10, v13
	s_delay_alu instid0(VALU_DEP_4) | instskip(NEXT) | instid1(VALU_DEP_2)
	v_fma_f32 v6, -v5, v2, v6
	v_sub_f32_e32 v8, v4, v3
	v_sub_f32_e32 v9, v4, v5
	;; [unrolled: 1-line block ×3, first 2 shown]
	s_delay_alu instid0(VALU_DEP_4) | instskip(SKIP_1) | instid1(VALU_DEP_4)
	v_fma_f32 v3, -v3, v6, v1
	v_fma_f32 v1, v4, v6, -v1
	v_mul_f32_e32 v9, v8, v9
	s_delay_alu instid0(VALU_DEP_4) | instskip(NEXT) | instid1(VALU_DEP_2)
	v_mul_f32_e32 v4, v8, v5
	v_div_scale_f32 v5, null, v9, v9, v3
	s_delay_alu instid0(VALU_DEP_2) | instskip(SKIP_1) | instid1(VALU_DEP_3)
	v_div_scale_f32 v6, null, v4, v4, v1
	v_div_scale_f32 v14, vcc_lo, v3, v9, v3
	v_rcp_f32_e32 v8, v5
	s_delay_alu instid0(VALU_DEP_2) | instskip(SKIP_3) | instid1(VALU_DEP_2)
	v_rcp_f32_e32 v10, v6
	s_waitcnt_depctr 0xfff
	v_fma_f32 v11, -v5, v8, 1.0
	v_fma_f32 v12, -v6, v10, 1.0
	v_fmac_f32_e32 v8, v11, v8
	v_div_scale_f32 v11, s0, v1, v4, v1
	s_delay_alu instid0(VALU_DEP_3) | instskip(NEXT) | instid1(VALU_DEP_1)
	v_fmac_f32_e32 v10, v12, v10
	v_dual_mul_f32 v12, v14, v8 :: v_dual_mul_f32 v15, v11, v10
	s_delay_alu instid0(VALU_DEP_1) | instskip(NEXT) | instid1(VALU_DEP_2)
	v_fma_f32 v16, -v5, v12, v14
	v_fma_f32 v17, -v6, v15, v11
	s_delay_alu instid0(VALU_DEP_1) | instskip(NEXT) | instid1(VALU_DEP_1)
	v_dual_fmac_f32 v12, v16, v8 :: v_dual_fmac_f32 v15, v17, v10
	v_fma_f32 v5, -v5, v12, v14
	s_delay_alu instid0(VALU_DEP_2) | instskip(NEXT) | instid1(VALU_DEP_2)
	v_fma_f32 v6, -v6, v15, v11
	v_div_fmas_f32 v5, v5, v8, v12
	s_mov_b32 vcc_lo, s0
	s_delay_alu instid0(VALU_DEP_2) | instskip(NEXT) | instid1(VALU_DEP_2)
	v_div_fmas_f32 v6, v6, v10, v15
	v_div_fixup_f32 v116, v5, v9, v3
	s_delay_alu instid0(VALU_DEP_2) | instskip(NEXT) | instid1(VALU_DEP_1)
	v_div_fixup_f32 v15, v6, v4, v1
	v_sub_f32_e32 v1, v2, v15
	s_delay_alu instid0(VALU_DEP_1)
	v_sub_f32_e32 v14, v1, v116
.LBB0_284:
	s_or_b32 exec_lo, exec_lo, s10
                                        ; implicit-def: $vgpr16
                                        ; implicit-def: $vgpr115
.LBB0_285:
	s_and_not1_saveexec_b32 s0, s9
	s_cbranch_execz .LBB0_287
; %bb.286:
	v_mul_f32_e32 v1, 0xbfb8aa3b, v115
	s_mov_b32 s1, 0xaf31cb49
	v_cmp_nlt_f32_e32 vcc_lo, 0x42ce8ed0, v115
	s_mov_b32 s2, 0x2f1fcb23
	v_mov_b32_e32 v116, 0
	v_rndne_f32_e32 v4, v1
	v_fma_f32 v5, 0xbfb8aa3b, v115, -v1
	v_mov_b32_e32 v13, 0
	s_delay_alu instid0(VALU_DEP_3) | instskip(NEXT) | instid1(VALU_DEP_3)
	v_sub_f32_e32 v1, v1, v4
	v_fmamk_f32 v5, v115, 0xb2a5705f, v5
	v_fmaak_f32 v0, s1, v16, 0x3106d68d
	v_cvt_i32_f32_e32 v4, v4
	s_mov_b32 s1, 0xace01337
	s_delay_alu instid0(VALU_DEP_2) | instskip(SKIP_1) | instid1(VALU_DEP_2)
	v_dual_add_f32 v1, v1, v5 :: v_dual_fmaak_f32 v0, v16, v0, 0xb2b806a8
	v_dual_add_f32 v5, v115, v115 :: v_dual_fmaak_f32 v2, s1, v16, 0x2eba5957
	v_exp_f32_e32 v1, v1
	s_waitcnt_depctr 0xfff
	v_ldexp_f32 v1, v1, v4
	s_delay_alu instid0(VALU_DEP_1) | instskip(NEXT) | instid1(VALU_DEP_1)
	v_dual_fmaak_f32 v0, v16, v0, 0x34693c08 :: v_dual_cndmask_b32 v1, 0, v1
	v_fmaak_f32 v0, v16, v0, 0xb6057233
	v_cmp_ngt_f32_e32 vcc_lo, 0xc2b17218, v115
	s_delay_alu instid0(VALU_DEP_2) | instskip(NEXT) | instid1(VALU_DEP_4)
	v_fmaak_f32 v0, v16, v0, 0x3788416e
	v_cndmask_b32_e32 v1, 0x7f800000, v1, vcc_lo
	s_delay_alu instid0(VALU_DEP_2) | instskip(NEXT) | instid1(VALU_DEP_1)
	v_fmaak_f32 v0, v16, v0, 0xb8f4d278
	v_fmaak_f32 v0, v16, v0, 0x3a3e0676
	s_delay_alu instid0(VALU_DEP_1) | instskip(NEXT) | instid1(VALU_DEP_1)
	v_fmaak_f32 v0, v16, v0, 0xbb78b3dc
	v_fmaak_f32 v0, v16, v0, 0x3c847be0
	s_delay_alu instid0(VALU_DEP_1) | instskip(NEXT) | instid1(VALU_DEP_1)
	;; [unrolled: 3-line block ×3, first 2 shown]
	v_dual_fmaak_f32 v2, v16, v2, 0xb00d9f71 :: v_dual_fmac_f32 v1, v5, v4
	v_fmaak_f32 v2, v16, v2, 0xafd37520
	v_fmaak_f32 v3, s2, v16, 0x310e536f
	s_delay_alu instid0(VALU_DEP_2) | instskip(NEXT) | instid1(VALU_DEP_1)
	v_fmaak_f32 v2, v16, v2, 0x33b5f0b5
	v_fmaak_f32 v2, v16, v2, 0xb5f8b6ab
	s_delay_alu instid0(VALU_DEP_1) | instskip(NEXT) | instid1(VALU_DEP_1)
	v_fmaak_f32 v2, v16, v2, 0x37cf5c03
	v_fmaak_f32 v2, v16, v2, 0xb9828eac
	s_delay_alu instid0(VALU_DEP_1) | instskip(NEXT) | instid1(VALU_DEP_1)
	v_fmaak_f32 v2, v16, v2, 0x3b0fa32a
	v_fmaak_f32 v0, v16, v2, 0xbc85cca5
	s_delay_alu instid0(VALU_DEP_1) | instskip(SKIP_1) | instid1(VALU_DEP_1)
	v_fmaak_f32 v0, v16, v0, 0x3db1c8b1
	v_fmaak_f32 v3, v16, v3, 0xb2a165e8
	;; [unrolled: 1-line block ×3, first 2 shown]
	s_delay_alu instid0(VALU_DEP_1) | instskip(NEXT) | instid1(VALU_DEP_1)
	v_fmaak_f32 v3, v16, v3, 0x3616d1dc
	v_fmaak_f32 v3, v16, v3, 0x3723e08c
	s_delay_alu instid0(VALU_DEP_1) | instskip(NEXT) | instid1(VALU_DEP_1)
	v_fmaak_f32 v3, v16, v3, 0xb94a8b33
	v_fmaak_f32 v3, v16, v3, 0xbacf2d86
	;; [unrolled: 3-line block ×3, first 2 shown]
	s_delay_alu instid0(VALU_DEP_1) | instskip(NEXT) | instid1(VALU_DEP_1)
	v_fmaak_f32 v7, v16, v2, 0x3fe6e9cb
	v_dual_sub_f32 v2, v4, v1 :: v_dual_add_f32 v3, 1.0, v7
	s_delay_alu instid0(VALU_DEP_1) | instskip(SKIP_1) | instid1(VALU_DEP_2)
	v_fmac_f32_e32 v4, v0, v2
	v_sub_f32_e32 v2, v7, v0
	v_mul_f32_e32 v3, v3, v4
	s_delay_alu instid0(VALU_DEP_1) | instskip(SKIP_1) | instid1(VALU_DEP_2)
	v_div_scale_f32 v4, null, v2, v2, v3
	v_div_scale_f32 v8, vcc_lo, v3, v2, v3
	v_rcp_f32_e32 v5, v4
	s_waitcnt_depctr 0xfff
	v_fma_f32 v6, -v4, v5, 1.0
	s_delay_alu instid0(VALU_DEP_1) | instskip(NEXT) | instid1(VALU_DEP_1)
	v_fmac_f32_e32 v5, v6, v5
	v_mul_f32_e32 v6, v8, v5
	s_delay_alu instid0(VALU_DEP_1) | instskip(NEXT) | instid1(VALU_DEP_1)
	v_fma_f32 v9, -v4, v6, v8
	v_fmac_f32_e32 v6, v9, v5
	s_delay_alu instid0(VALU_DEP_1) | instskip(NEXT) | instid1(VALU_DEP_1)
	v_fma_f32 v4, -v4, v6, v8
	v_div_fmas_f32 v4, v4, v5, v6
	s_delay_alu instid0(VALU_DEP_1) | instskip(NEXT) | instid1(VALU_DEP_1)
	v_div_fixup_f32 v15, v4, v2, v3
	v_sub_f32_e32 v14, v1, v15
.LBB0_287:
	s_or_b32 exec_lo, exec_lo, s0
                                        ; implicit-def: $vgpr16
                                        ; implicit-def: $vgpr115
.LBB0_288:
	s_and_not1_saveexec_b32 s0, s8
	s_cbranch_execz .LBB0_292
; %bb.289:
	v_mov_b32_e32 v116, 0
	v_mov_b32_e32 v14, 0
	;; [unrolled: 1-line block ×3, first 2 shown]
	s_mov_b32 s1, exec_lo
	v_cmpx_eq_u32_e32 0, v64
	s_cbranch_execz .LBB0_291
; %bb.290:
	v_mul_f32_e32 v1, 0xbfb8aa3b, v115
	s_mov_b32 s2, 0xaf31cb49
	v_cmp_nlt_f32_e32 vcc_lo, 0x42ce8ed0, v115
	s_delay_alu instid0(VALU_DEP_2) | instskip(SKIP_1) | instid1(VALU_DEP_2)
	v_rndne_f32_e32 v2, v1
	v_fma_f32 v3, 0xbfb8aa3b, v115, -v1
	v_dual_fmaak_f32 v0, s2, v16, 0x3106d68d :: v_dual_sub_f32 v1, v1, v2
	s_delay_alu instid0(VALU_DEP_2) | instskip(NEXT) | instid1(VALU_DEP_2)
	v_fmamk_f32 v3, v115, 0xb2a5705f, v3
	v_fmaak_f32 v0, v16, v0, 0xb2b806a8
	v_cvt_i32_f32_e32 v2, v2
	s_delay_alu instid0(VALU_DEP_3) | instskip(NEXT) | instid1(VALU_DEP_1)
	v_add_f32_e32 v1, v1, v3
	v_exp_f32_e32 v1, v1
	s_waitcnt_depctr 0xfff
	v_ldexp_f32 v1, v1, v2
	s_delay_alu instid0(VALU_DEP_1) | instskip(NEXT) | instid1(VALU_DEP_1)
	v_dual_fmaak_f32 v0, v16, v0, 0x34693c08 :: v_dual_cndmask_b32 v1, 0, v1
	v_fmaak_f32 v0, v16, v0, 0xb6057233
	v_cmp_ngt_f32_e32 vcc_lo, 0xc2b17218, v115
	s_delay_alu instid0(VALU_DEP_2) | instskip(NEXT) | instid1(VALU_DEP_4)
	v_fmaak_f32 v0, v16, v0, 0x3788416e
	v_cndmask_b32_e32 v14, 0x7f800000, v1, vcc_lo
	s_delay_alu instid0(VALU_DEP_2) | instskip(NEXT) | instid1(VALU_DEP_1)
	v_fmaak_f32 v0, v16, v0, 0xb8f4d278
	v_fmaak_f32 v0, v16, v0, 0x3a3e0676
	s_delay_alu instid0(VALU_DEP_1) | instskip(NEXT) | instid1(VALU_DEP_1)
	v_fmaak_f32 v0, v16, v0, 0xbb78b3dc
	v_fmaak_f32 v0, v16, v0, 0x3c847be0
	s_delay_alu instid0(VALU_DEP_1) | instskip(NEXT) | instid1(VALU_DEP_1)
	v_fmaak_f32 v0, v16, v0, 0xbd58da91
	v_fmaak_f32 v0, v16, v0, 0x3decf544
	v_add_f32_e32 v2, v115, v115
	s_delay_alu instid0(VALU_DEP_1) | instskip(NEXT) | instid1(VALU_DEP_1)
	v_fmac_f32_e32 v14, v2, v0
	v_sub_f32_e32 v1, v14, v0
	s_delay_alu instid0(VALU_DEP_1) | instskip(NEXT) | instid1(VALU_DEP_1)
	v_div_scale_f32 v2, null, v1, v1, v0
	v_rcp_f32_e32 v3, v2
	s_waitcnt_depctr 0xfff
	v_fma_f32 v4, -v2, v3, 1.0
	s_delay_alu instid0(VALU_DEP_1) | instskip(SKIP_1) | instid1(VALU_DEP_1)
	v_fmac_f32_e32 v3, v4, v3
	v_div_scale_f32 v4, vcc_lo, v0, v1, v0
	v_mul_f32_e32 v5, v4, v3
	s_delay_alu instid0(VALU_DEP_1) | instskip(NEXT) | instid1(VALU_DEP_1)
	v_fma_f32 v6, -v2, v5, v4
	v_fmac_f32_e32 v5, v6, v3
	s_delay_alu instid0(VALU_DEP_1) | instskip(NEXT) | instid1(VALU_DEP_1)
	v_fma_f32 v2, -v2, v5, v4
	v_div_fmas_f32 v2, v2, v3, v5
	s_delay_alu instid0(VALU_DEP_1)
	v_div_fixup_f32 v0, v2, v1, v0
.LBB0_291:
	s_or_b32 exec_lo, exec_lo, s1
	v_mov_b32_e32 v15, 0
	v_mov_b32_e32 v13, 0
	v_mov_b32_e32 v7, 0
.LBB0_292:
	s_or_b32 exec_lo, exec_lo, s0
	s_delay_alu instid0(SALU_CYCLE_1)
	s_or_b32 exec_lo, exec_lo, s3
                                        ; implicit-def: $vgpr115
.LBB0_293:
	s_and_not1_saveexec_b32 s3, s7
	s_cbranch_execz .LBB0_370
.LBB0_294:
                                        ; implicit-def: $vgpr116
                                        ; implicit-def: $vgpr15
                                        ; implicit-def: $vgpr14
                                        ; implicit-def: $vgpr13
	s_mov_b32 s0, exec_lo
	v_cmpx_lt_i32_e32 0, v64
	s_xor_b32 s7, exec_lo, s0
                                        ; implicit-def: $vgpr0_vgpr1_vgpr2_vgpr3_vgpr4_vgpr5_vgpr6
                                        ; implicit-def: $vgpr6_vgpr7_vgpr8_vgpr9_vgpr10_vgpr11_vgpr12
	s_cbranch_execz .LBB0_302
; %bb.295:
                                        ; implicit-def: $vgpr116
                                        ; implicit-def: $vgpr15
                                        ; implicit-def: $vgpr14
                                        ; implicit-def: $vgpr13
	s_mov_b32 s0, exec_lo
	v_cmpx_lt_i32_e32 1, v64
	s_xor_b32 s8, exec_lo, s0
                                        ; implicit-def: $vgpr0_vgpr1_vgpr2_vgpr3_vgpr4_vgpr5_vgpr6
                                        ; implicit-def: $vgpr6_vgpr7_vgpr8_vgpr9_vgpr10_vgpr11_vgpr12
	s_cbranch_execz .LBB0_299
; %bb.296:
	v_dual_mov_b32 v116, 0 :: v_dual_mov_b32 v15, 0
	v_dual_mov_b32 v14, 0 :: v_dual_mov_b32 v13, 0
	;; [unrolled: 1-line block ×3, first 2 shown]
	s_mov_b32 s9, exec_lo
	v_cmpx_eq_u32_e32 2, v64
	s_cbranch_execz .LBB0_298
; %bb.297:
	v_mul_f32_e32 v1, 0xbfb8aa3b, v115
	s_mov_b32 s0, 0xb3a3678d
	s_mov_b32 s2, 0xb21f8577
	v_cmp_nlt_f32_e32 vcc_lo, 0x42ce8ed0, v115
	v_fmaak_f32 v6, s2, v115, 0xb4a28ea1
	v_rndne_f32_e32 v3, v1
	v_fma_f32 v4, 0xbfb8aa3b, v115, -v1
	s_mov_b32 s1, 0xb00c3d32
	s_delay_alu instid0(VALU_DEP_2) | instskip(NEXT) | instid1(VALU_DEP_2)
	v_dual_fmaak_f32 v6, v115, v6, 0xb62843db :: v_dual_sub_f32 v1, v1, v3
	v_fmamk_f32 v4, v115, 0xb2a5705f, v4
	v_fmaak_f32 v0, s0, v115, 0x35930a14
	s_mov_b32 s0, 0xb25ebb25
	v_cvt_i32_f32_e32 v3, v3
	v_fmaak_f32 v5, s0, v115, 0x33a65836
	v_add_f32_e32 v1, v1, v4
	s_delay_alu instid0(VALU_DEP_2) | instskip(NEXT) | instid1(VALU_DEP_2)
	v_fmaak_f32 v5, v115, v5, 0x35d16908
	v_exp_f32_e32 v1, v1
	s_delay_alu instid0(VALU_DEP_1) | instskip(NEXT) | instid1(VALU_DEP_1)
	v_fmaak_f32 v4, v115, v5, 0xb7849568
	v_fmaak_f32 v4, v115, v4, 0xb9ad3ff4
	s_waitcnt_depctr 0xfff
	v_ldexp_f32 v1, v1, v3
	v_fmaak_f32 v0, v115, v0, 0xb72d9523
	s_delay_alu instid0(VALU_DEP_2) | instskip(NEXT) | instid1(VALU_DEP_2)
	v_dual_fmaak_f32 v4, v115, v4, 0x3c1f9fb7 :: v_dual_cndmask_b32 v1, 0, v1
	v_fmaak_f32 v0, v115, v0, 0x38ab321b
	v_cmp_ngt_f32_e32 vcc_lo, 0xc2b17218, v115
	s_delay_alu instid0(VALU_DEP_3) | instskip(NEXT) | instid1(VALU_DEP_3)
	v_fmaak_f32 v3, v115, v4, 0xbdf4c255
	v_fmaak_f32 v0, v115, v0, 0xba11a0c3
	v_cndmask_b32_e32 v1, 0x7f800000, v1, vcc_lo
	s_delay_alu instid0(VALU_DEP_3) | instskip(NEXT) | instid1(VALU_DEP_3)
	v_fmaak_f32 v7, v115, v3, 0x3f46dde5
	v_fmaak_f32 v0, v115, v0, 0x3b520d00
	s_delay_alu instid0(VALU_DEP_2) | instskip(NEXT) | instid1(VALU_DEP_2)
	v_add_f32_e32 v8, 1.0, v7
	v_fmaak_f32 v0, v115, v0, 0xbc783e0e
	s_delay_alu instid0(VALU_DEP_2) | instskip(NEXT) | instid1(VALU_DEP_2)
	v_div_scale_f32 v12, null, v8, v8, v7
	v_fmaak_f32 v0, v115, v0, 0x3d638e39
	s_delay_alu instid0(VALU_DEP_2) | instskip(NEXT) | instid1(VALU_DEP_1)
	v_rcp_f32_e32 v16, v12
	v_fmaak_f32 v4, v115, v0, 0xbe124925
	s_waitcnt_depctr 0xfff
	v_fma_f32 v21, -v12, v16, 1.0
	s_delay_alu instid0(VALU_DEP_1) | instskip(NEXT) | instid1(VALU_DEP_1)
	v_dual_fmaak_f32 v5, v115, v6, 0xb6f5dcde :: v_dual_fmac_f32 v16, v21, v16
	v_fmaak_f32 v5, v115, v5, 0x39800a51
	s_delay_alu instid0(VALU_DEP_1) | instskip(NEXT) | instid1(VALU_DEP_1)
	v_fmaak_f32 v5, v115, v5, 0x3d4aa72f
	v_fmaak_f32 v5, v115, v5, 0xbf8334b6
	s_delay_alu instid0(VALU_DEP_1) | instskip(NEXT) | instid1(VALU_DEP_1)
	v_fmaak_f32 v13, v115, v5, 0x40d535a8
	v_add_f32_e32 v10, 1.0, v13
	s_delay_alu instid0(VALU_DEP_1) | instskip(SKIP_1) | instid1(VALU_DEP_2)
	v_div_scale_f32 v14, null, v10, v10, v13
	v_div_scale_f32 v21, s2, v13, v10, v13
	v_rcp_f32_e32 v17, v14
	s_waitcnt_depctr 0xfff
	v_fma_f32 v22, -v14, v17, 1.0
	s_delay_alu instid0(VALU_DEP_1) | instskip(NEXT) | instid1(VALU_DEP_1)
	v_dual_fmaak_f32 v2, s1, v115, 0x32ce461e :: v_dual_fmac_f32 v17, v22, v17
	v_dual_fmaak_f32 v2, v115, v2, 0xb5068207 :: v_dual_mul_f32 v25, v21, v17
	s_delay_alu instid0(VALU_DEP_1) | instskip(NEXT) | instid1(VALU_DEP_2)
	v_fmaak_f32 v2, v115, v2, 0x36fe70ba
	v_fma_f32 v118, -v14, v25, v21
	s_delay_alu instid0(VALU_DEP_1) | instskip(NEXT) | instid1(VALU_DEP_1)
	v_dual_fmaak_f32 v2, v115, v2, 0xb8c84bc4 :: v_dual_fmac_f32 v25, v118, v17
	v_fmaak_f32 v2, v115, v2, 0x3a86dd2d
	s_delay_alu instid0(VALU_DEP_2) | instskip(NEXT) | instid1(VALU_DEP_2)
	v_fma_f32 v14, -v14, v25, v21
	v_fmaak_f32 v2, v115, v2, 0xbc182fe0
	s_delay_alu instid0(VALU_DEP_1) | instskip(SKIP_2) | instid1(VALU_DEP_3)
	v_fmaak_f32 v0, v115, v2, 0x3d774dcb
	v_fmaak_f32 v2, v115, v4, 0x3e4ccccd
	v_add_f32_e32 v4, v115, v115
	v_add_f32_e32 v6, 1.0, v0
	s_delay_alu instid0(VALU_DEP_2) | instskip(NEXT) | instid1(VALU_DEP_2)
	v_fma_f32 v3, v4, v2, v1
	v_div_scale_f32 v5, null, v6, v6, v0
	s_delay_alu instid0(VALU_DEP_2) | instskip(SKIP_1) | instid1(VALU_DEP_3)
	v_div_scale_f32 v9, null, 0x40400000, 0x40400000, v3
	v_div_scale_f32 v20, vcc_lo, v3, 0x40400000, v3
	v_rcp_f32_e32 v11, v5
	s_delay_alu instid0(VALU_DEP_2) | instskip(SKIP_3) | instid1(VALU_DEP_2)
	v_rcp_f32_e32 v15, v9
	s_waitcnt_depctr 0xfff
	v_fma_f32 v18, -v5, v11, 1.0
	v_fma_f32 v19, -v9, v15, 1.0
	v_fmac_f32_e32 v11, v18, v11
	s_delay_alu instid0(VALU_DEP_2) | instskip(SKIP_2) | instid1(VALU_DEP_3)
	v_fmac_f32_e32 v15, v19, v15
	v_div_scale_f32 v18, s0, v0, v6, v0
	v_div_scale_f32 v19, s1, v7, v8, v7
	v_mul_f32_e32 v22, v20, v15
	s_delay_alu instid0(VALU_DEP_2) | instskip(NEXT) | instid1(VALU_DEP_2)
	v_dual_mul_f32 v23, v18, v11 :: v_dual_mul_f32 v24, v19, v16
	v_fma_f32 v115, -v9, v22, v20
	s_delay_alu instid0(VALU_DEP_2) | instskip(NEXT) | instid1(VALU_DEP_3)
	v_fma_f32 v116, -v5, v23, v18
	v_fma_f32 v117, -v12, v24, v19
	s_delay_alu instid0(VALU_DEP_3) | instskip(NEXT) | instid1(VALU_DEP_2)
	v_fmac_f32_e32 v22, v115, v15
	v_dual_fmac_f32 v23, v116, v11 :: v_dual_fmac_f32 v24, v117, v16
	s_delay_alu instid0(VALU_DEP_2) | instskip(NEXT) | instid1(VALU_DEP_2)
	v_fma_f32 v9, -v9, v22, v20
	v_fma_f32 v5, -v5, v23, v18
	s_delay_alu instid0(VALU_DEP_3) | instskip(NEXT) | instid1(VALU_DEP_3)
	v_fma_f32 v12, -v12, v24, v19
	v_div_fmas_f32 v9, v9, v15, v22
	s_mov_b32 vcc_lo, s0
	s_delay_alu instid0(VALU_DEP_3) | instskip(SKIP_1) | instid1(VALU_DEP_2)
	v_div_fmas_f32 v5, v5, v11, v23
	s_mov_b32 vcc_lo, s1
	v_div_fixup_f32 v3, v9, 0x40400000, v3
	v_div_fmas_f32 v11, v12, v16, v24
	s_mov_b32 vcc_lo, s2
	v_div_fixup_f32 v5, v5, v6, v0
	v_div_fmas_f32 v9, v14, v17, v25
	v_fmac_f32_e32 v1, v4, v3
	v_div_fixup_f32 v6, v11, v8, v7
	s_delay_alu instid0(VALU_DEP_4) | instskip(NEXT) | instid1(VALU_DEP_4)
	v_fma_f32 v2, -v5, v3, v2
	v_div_fixup_f32 v4, v9, v10, v13
	s_delay_alu instid0(VALU_DEP_4) | instskip(NEXT) | instid1(VALU_DEP_2)
	v_fma_f32 v3, -v5, v1, v3
	v_sub_f32_e32 v8, v4, v6
	v_sub_f32_e32 v9, v4, v5
	;; [unrolled: 1-line block ×3, first 2 shown]
	s_delay_alu instid0(VALU_DEP_4) | instskip(SKIP_1) | instid1(VALU_DEP_4)
	v_fma_f32 v6, -v6, v3, v2
	v_fma_f32 v2, v4, v3, -v2
	v_mul_f32_e32 v9, v8, v9
	s_delay_alu instid0(VALU_DEP_4) | instskip(NEXT) | instid1(VALU_DEP_2)
	v_mul_f32_e32 v3, v8, v5
	v_div_scale_f32 v4, null, v9, v9, v6
	s_delay_alu instid0(VALU_DEP_2) | instskip(SKIP_1) | instid1(VALU_DEP_3)
	v_div_scale_f32 v5, null, v3, v3, v2
	v_div_scale_f32 v14, vcc_lo, v6, v9, v6
	v_rcp_f32_e32 v8, v4
	s_delay_alu instid0(VALU_DEP_2) | instskip(SKIP_3) | instid1(VALU_DEP_2)
	v_rcp_f32_e32 v10, v5
	s_waitcnt_depctr 0xfff
	v_fma_f32 v11, -v4, v8, 1.0
	v_fma_f32 v12, -v5, v10, 1.0
	v_fmac_f32_e32 v8, v11, v8
	v_div_scale_f32 v11, s0, v2, v3, v2
	s_delay_alu instid0(VALU_DEP_3) | instskip(NEXT) | instid1(VALU_DEP_1)
	v_fmac_f32_e32 v10, v12, v10
	v_dual_mul_f32 v12, v14, v8 :: v_dual_mul_f32 v15, v11, v10
	s_delay_alu instid0(VALU_DEP_1) | instskip(NEXT) | instid1(VALU_DEP_2)
	v_fma_f32 v16, -v4, v12, v14
	v_fma_f32 v17, -v5, v15, v11
	s_delay_alu instid0(VALU_DEP_1) | instskip(NEXT) | instid1(VALU_DEP_1)
	v_dual_fmac_f32 v12, v16, v8 :: v_dual_fmac_f32 v15, v17, v10
	v_fma_f32 v4, -v4, v12, v14
	s_delay_alu instid0(VALU_DEP_2) | instskip(NEXT) | instid1(VALU_DEP_2)
	v_fma_f32 v5, -v5, v15, v11
	v_div_fmas_f32 v4, v4, v8, v12
	s_mov_b32 vcc_lo, s0
	s_delay_alu instid0(VALU_DEP_2) | instskip(NEXT) | instid1(VALU_DEP_2)
	v_div_fmas_f32 v5, v5, v10, v15
	v_div_fixup_f32 v116, v4, v9, v6
	s_delay_alu instid0(VALU_DEP_2) | instskip(NEXT) | instid1(VALU_DEP_1)
	v_div_fixup_f32 v15, v5, v3, v2
	v_sub_f32_e32 v1, v1, v15
	s_delay_alu instid0(VALU_DEP_1)
	v_sub_f32_e32 v14, v1, v116
.LBB0_298:
	s_or_b32 exec_lo, exec_lo, s9
                                        ; implicit-def: $vgpr115
.LBB0_299:
	s_and_not1_saveexec_b32 s0, s8
	s_cbranch_execz .LBB0_301
; %bb.300:
	v_mul_f32_e32 v0, 0xbfb8aa3b, v115
	s_mov_b32 s1, 0xb3b398d8
	v_cmp_nlt_f32_e32 vcc_lo, 0x42ce8ed0, v115
	s_mov_b32 s2, 0xb2d484ea
	v_mov_b32_e32 v116, 0
	v_rndne_f32_e32 v2, v0
	v_fmaak_f32 v1, s1, v115, 0x35a2b3c5
	v_fma_f32 v3, 0xbfb8aa3b, v115, -v0
	s_mov_b32 s1, 0xb121a6de
	s_delay_alu instid0(VALU_DEP_3) | instskip(SKIP_1) | instid1(VALU_DEP_3)
	v_dual_mov_b32 v13, 0 :: v_dual_sub_f32 v0, v0, v2
	v_cvt_i32_f32_e32 v2, v2
	v_fmamk_f32 v3, v115, 0xb2a5705f, v3
	s_delay_alu instid0(VALU_DEP_1) | instskip(NEXT) | instid1(VALU_DEP_1)
	v_dual_fmaak_f32 v1, v115, v1, 0xb7420cb6 :: v_dual_add_f32 v0, v0, v3
	v_fmaak_f32 v1, v115, v1, 0x38c20728
	s_delay_alu instid0(VALU_DEP_2) | instskip(NEXT) | instid1(VALU_DEP_1)
	v_exp_f32_e32 v0, v0
	v_fmaak_f32 v1, v115, v1, 0xba280863
	s_delay_alu instid0(VALU_DEP_1) | instskip(SKIP_2) | instid1(VALU_DEP_1)
	v_fmaak_f32 v1, v115, v1, 0x3b783dec
	s_waitcnt_depctr 0xfff
	v_ldexp_f32 v0, v0, v2
	v_dual_fmaak_f32 v1, v115, v1, 0xbc97b425 :: v_dual_cndmask_b32 v0, 0, v0
	s_delay_alu instid0(VALU_DEP_1) | instskip(SKIP_1) | instid1(VALU_DEP_2)
	v_fmaak_f32 v1, v115, v1, 0x3d924925
	v_cmp_ngt_f32_e32 vcc_lo, 0xc2b17218, v115
	v_fmaak_f32 v1, v115, v1, 0xbe4ccccd
	s_delay_alu instid0(VALU_DEP_1) | instskip(SKIP_2) | instid1(VALU_DEP_2)
	v_fmaak_f32 v1, v115, v1, 0x3eaaaaab
	v_fmaak_f32 v4, s1, v115, 0x32d609dd
	;; [unrolled: 1-line block ×4, first 2 shown]
	s_delay_alu instid0(VALU_DEP_2) | instskip(SKIP_1) | instid1(VALU_DEP_3)
	v_fmaak_f32 v4, v115, v5, 0x35f656c1
	v_add_f32_e32 v5, v115, v115
	v_fmaak_f32 v3, v115, v3, 0xb6243b79
	s_delay_alu instid0(VALU_DEP_3) | instskip(NEXT) | instid1(VALU_DEP_2)
	v_fmaak_f32 v4, v115, v4, 0xb7ad52a3
	v_fmaak_f32 v3, v115, v3, 0x3846f2b8
	s_delay_alu instid0(VALU_DEP_2) | instskip(NEXT) | instid1(VALU_DEP_2)
	v_fmaak_f32 v4, v115, v4, 0xb90d1b2f
	v_fmaak_f32 v2, v115, v3, 0xba0bc56c
	s_delay_alu instid0(VALU_DEP_2) | instskip(SKIP_1) | instid1(VALU_DEP_3)
	v_fmaak_f32 v3, v115, v4, 0xb876b098
	v_cndmask_b32_e32 v4, 0x7f800000, v0, vcc_lo
	v_fmaak_f32 v2, v115, v2, 0x3b91b45c
	s_delay_alu instid0(VALU_DEP_2) | instskip(NEXT) | instid1(VALU_DEP_2)
	v_dual_fmaak_f32 v3, v115, v3, 0x3d5a3552 :: v_dual_fmac_f32 v4, v5, v1
	v_fmaak_f32 v0, v115, v2, 0xbcedeba3
	s_delay_alu instid0(VALU_DEP_2) | instskip(NEXT) | instid1(VALU_DEP_2)
	v_fmaak_f32 v2, v115, v3, 0xbf233b4e
	v_fmaak_f32 v0, v115, v0, 0x3e05d48b
	s_delay_alu instid0(VALU_DEP_2) | instskip(NEXT) | instid1(VALU_DEP_1)
	v_dual_fmaak_f32 v7, v115, v2, 0x4037a2b7 :: v_dual_sub_f32 v2, v1, v4
	v_add_f32_e32 v3, 1.0, v7
	s_delay_alu instid0(VALU_DEP_2) | instskip(NEXT) | instid1(VALU_DEP_1)
	v_dual_fmac_f32 v1, v0, v2 :: v_dual_sub_f32 v2, v7, v0
	v_mul_f32_e32 v1, v3, v1
	s_delay_alu instid0(VALU_DEP_1) | instskip(SKIP_1) | instid1(VALU_DEP_2)
	v_div_scale_f32 v3, null, v2, v2, v1
	v_div_scale_f32 v8, vcc_lo, v1, v2, v1
	v_rcp_f32_e32 v5, v3
	s_waitcnt_depctr 0xfff
	v_fma_f32 v6, -v3, v5, 1.0
	s_delay_alu instid0(VALU_DEP_1) | instskip(NEXT) | instid1(VALU_DEP_1)
	v_fmac_f32_e32 v5, v6, v5
	v_mul_f32_e32 v6, v8, v5
	s_delay_alu instid0(VALU_DEP_1) | instskip(NEXT) | instid1(VALU_DEP_1)
	v_fma_f32 v9, -v3, v6, v8
	v_fmac_f32_e32 v6, v9, v5
	s_delay_alu instid0(VALU_DEP_1) | instskip(NEXT) | instid1(VALU_DEP_1)
	v_fma_f32 v3, -v3, v6, v8
	v_div_fmas_f32 v3, v3, v5, v6
	s_delay_alu instid0(VALU_DEP_1) | instskip(NEXT) | instid1(VALU_DEP_1)
	v_div_fixup_f32 v15, v3, v2, v1
	v_sub_f32_e32 v14, v4, v15
.LBB0_301:
	s_or_b32 exec_lo, exec_lo, s0
                                        ; implicit-def: $vgpr115
.LBB0_302:
	s_and_not1_saveexec_b32 s0, s7
	s_cbranch_execz .LBB0_306
; %bb.303:
	v_mov_b32_e32 v116, 0
	v_mov_b32_e32 v14, 0
	;; [unrolled: 1-line block ×3, first 2 shown]
	s_mov_b32 s1, exec_lo
	v_cmpx_eq_u32_e32 0, v64
	s_cbranch_execz .LBB0_305
; %bb.304:
	v_mul_f32_e32 v0, 0xbfb8aa3b, v115
	s_mov_b32 s2, 0xb3b398d8
	v_cmp_nlt_f32_e32 vcc_lo, 0x42ce8ed0, v115
	s_delay_alu instid0(VALU_DEP_2) | instskip(SKIP_1) | instid1(VALU_DEP_2)
	v_rndne_f32_e32 v2, v0
	v_fma_f32 v3, 0xbfb8aa3b, v115, -v0
	v_dual_fmaak_f32 v1, s2, v115, 0x35a2b3c5 :: v_dual_sub_f32 v0, v0, v2
	s_delay_alu instid0(VALU_DEP_2) | instskip(NEXT) | instid1(VALU_DEP_2)
	v_fmamk_f32 v3, v115, 0xb2a5705f, v3
	v_fmaak_f32 v1, v115, v1, 0xb7420cb6
	v_cvt_i32_f32_e32 v2, v2
	s_delay_alu instid0(VALU_DEP_3) | instskip(NEXT) | instid1(VALU_DEP_1)
	v_add_f32_e32 v0, v0, v3
	v_exp_f32_e32 v0, v0
	s_waitcnt_depctr 0xfff
	v_ldexp_f32 v0, v0, v2
	v_add_f32_e32 v2, v115, v115
	s_delay_alu instid0(VALU_DEP_2) | instskip(SKIP_1) | instid1(VALU_DEP_2)
	v_cndmask_b32_e32 v0, 0, v0, vcc_lo
	v_cmp_ngt_f32_e32 vcc_lo, 0xc2b17218, v115
	v_cndmask_b32_e32 v14, 0x7f800000, v0, vcc_lo
	v_fmaak_f32 v1, v115, v1, 0x38c20728
	s_delay_alu instid0(VALU_DEP_1) | instskip(NEXT) | instid1(VALU_DEP_1)
	v_fmaak_f32 v1, v115, v1, 0xba280863
	v_fmaak_f32 v1, v115, v1, 0x3b783dec
	s_delay_alu instid0(VALU_DEP_1) | instskip(NEXT) | instid1(VALU_DEP_1)
	v_fmaak_f32 v1, v115, v1, 0xbc97b425
	;; [unrolled: 3-line block ×3, first 2 shown]
	v_fmaak_f32 v0, v115, v1, 0x3eaaaaab
	s_delay_alu instid0(VALU_DEP_1) | instskip(NEXT) | instid1(VALU_DEP_1)
	v_fmac_f32_e32 v14, v2, v0
	v_sub_f32_e32 v1, v14, v0
	s_delay_alu instid0(VALU_DEP_1) | instskip(NEXT) | instid1(VALU_DEP_1)
	v_div_scale_f32 v2, null, v1, v1, v0
	v_rcp_f32_e32 v3, v2
	s_waitcnt_depctr 0xfff
	v_fma_f32 v4, -v2, v3, 1.0
	s_delay_alu instid0(VALU_DEP_1) | instskip(SKIP_1) | instid1(VALU_DEP_1)
	v_fmac_f32_e32 v3, v4, v3
	v_div_scale_f32 v4, vcc_lo, v0, v1, v0
	v_mul_f32_e32 v5, v4, v3
	s_delay_alu instid0(VALU_DEP_1) | instskip(NEXT) | instid1(VALU_DEP_1)
	v_fma_f32 v6, -v2, v5, v4
	v_fmac_f32_e32 v5, v6, v3
	s_delay_alu instid0(VALU_DEP_1) | instskip(NEXT) | instid1(VALU_DEP_1)
	v_fma_f32 v2, -v2, v5, v4
	v_div_fmas_f32 v2, v2, v3, v5
	s_delay_alu instid0(VALU_DEP_1)
	v_div_fixup_f32 v0, v2, v1, v0
.LBB0_305:
	s_or_b32 exec_lo, exec_lo, s1
	v_mov_b32_e32 v15, 0
	v_mov_b32_e32 v13, 0
	v_mov_b32_e32 v7, 0
.LBB0_306:
	s_or_b32 exec_lo, exec_lo, s0
	s_delay_alu instid0(SALU_CYCLE_1)
	s_or_b32 exec_lo, exec_lo, s3
                                        ; implicit-def: $vgpr115
.LBB0_307:
	s_and_not1_saveexec_b32 s1, s6
	s_cbranch_execz .LBB0_321
.LBB0_308:
	s_mov_b32 s0, exec_lo
                                        ; implicit-def: $vgpr116
                                        ; implicit-def: $vgpr15
                                        ; implicit-def: $vgpr14
                                        ; implicit-def: $vgpr13
	v_cmpx_lt_i32_e32 0, v64
	s_xor_b32 s0, exec_lo, s0
                                        ; implicit-def: $vgpr0_vgpr1_vgpr2_vgpr3_vgpr4_vgpr5_vgpr6
                                        ; implicit-def: $vgpr6_vgpr7_vgpr8_vgpr9_vgpr10_vgpr11_vgpr12
	s_cbranch_execz .LBB0_316
; %bb.309:
	s_mov_b32 s2, exec_lo
                                        ; implicit-def: $vgpr116
                                        ; implicit-def: $vgpr15
                                        ; implicit-def: $vgpr14
                                        ; implicit-def: $vgpr13
	v_cmpx_lt_i32_e32 1, v64
	s_xor_b32 s2, exec_lo, s2
                                        ; implicit-def: $vgpr0_vgpr1_vgpr2_vgpr3_vgpr4_vgpr5_vgpr6
                                        ; implicit-def: $vgpr6_vgpr7_vgpr8_vgpr9_vgpr10_vgpr11_vgpr12
	s_cbranch_execz .LBB0_313
; %bb.310:
	v_dual_mov_b32 v116, 0 :: v_dual_mov_b32 v15, 0
	v_dual_mov_b32 v14, 0 :: v_dual_mov_b32 v13, 0
	;; [unrolled: 1-line block ×3, first 2 shown]
	s_mov_b32 s3, exec_lo
	v_cmpx_eq_u32_e32 2, v64
	s_cbranch_execz .LBB0_312
; %bb.311:
	s_mov_b32 s6, 0xbc182fe0
	s_mov_b32 s7, 0xbdf4c255
	v_fmaak_f32 v0, s6, v115, 0x3d774dcb
	v_fmaak_f32 v7, s7, v115, 0x3f46dde5
	s_mov_b32 s6, 0xbf8334b6
	s_mov_b32 s7, 0xbd675fa3
	v_fmaak_f32 v13, s6, v115, 0x40d535a8
	v_fmaak_f32 v14, s7, v115, 0x3eef926a
	;; [unrolled: 4-line block ×3, first 2 shown]
.LBB0_312:
	s_or_b32 exec_lo, exec_lo, s3
                                        ; implicit-def: $vgpr115
.LBB0_313:
	s_and_not1_saveexec_b32 s2, s2
; %bb.314:
	s_mov_b32 s3, 0xbcedeba3
	s_mov_b32 s6, 0xbf233b4e
	v_dual_fmaak_f32 v0, s3, v115, 0x3e05d48b :: v_dual_mov_b32 v13, 0
	v_dual_fmaak_f32 v7, s6, v115, 0x4037a2b7 :: v_dual_mov_b32 v116, 0
	s_mov_b32 s3, 0xbdfb5148
	s_mov_b32 s6, 0xbe57acb2
	v_fmaak_f32 v14, s3, v115, 0x3f26f2fc
	v_fmaak_f32 v15, s6, v115, 0x3eb21a08
; %bb.315:
	s_or_b32 exec_lo, exec_lo, s2
                                        ; implicit-def: $vgpr115
.LBB0_316:
	s_and_not1_saveexec_b32 s2, s0
	s_cbranch_execz .LBB0_320
; %bb.317:
	v_mov_b32_e32 v116, 0
	v_mov_b32_e32 v14, 0
	;; [unrolled: 1-line block ×3, first 2 shown]
	s_mov_b32 s3, exec_lo
	v_cmpx_eq_u32_e32 0, v64
	s_cbranch_execz .LBB0_319
; %bb.318:
	v_div_scale_f32 v0, null, 0xc0a00000, 0xc0a00000, v115
	v_div_scale_f32 v1, null, 0xc0400000, 0xc0400000, v115
	v_div_scale_f32 v6, vcc_lo, v115, 0xc0a00000, v115
	s_delay_alu instid0(VALU_DEP_3) | instskip(NEXT) | instid1(VALU_DEP_2)
	v_rcp_f32_e32 v2, v0
	v_rcp_f32_e32 v3, v1
	s_waitcnt_depctr 0xfff
	v_fma_f32 v4, -v0, v2, 1.0
	v_fma_f32 v5, -v1, v3, 1.0
	s_delay_alu instid0(VALU_DEP_1) | instskip(SKIP_1) | instid1(VALU_DEP_2)
	v_dual_fmac_f32 v2, v4, v2 :: v_dual_fmac_f32 v3, v5, v3
	v_div_scale_f32 v4, s0, v115, 0xc0400000, v115
	v_mul_f32_e32 v5, v6, v2
	s_delay_alu instid0(VALU_DEP_2) | instskip(NEXT) | instid1(VALU_DEP_2)
	v_mul_f32_e32 v7, v4, v3
	v_fma_f32 v8, -v0, v5, v6
	s_delay_alu instid0(VALU_DEP_2) | instskip(NEXT) | instid1(VALU_DEP_2)
	v_fma_f32 v9, -v1, v7, v4
	v_fmac_f32_e32 v5, v8, v2
	s_delay_alu instid0(VALU_DEP_2) | instskip(NEXT) | instid1(VALU_DEP_2)
	v_fmac_f32_e32 v7, v9, v3
	v_fma_f32 v0, -v0, v5, v6
	s_delay_alu instid0(VALU_DEP_2) | instskip(NEXT) | instid1(VALU_DEP_2)
	v_fma_f32 v1, -v1, v7, v4
	v_div_fmas_f32 v0, v0, v2, v5
	s_mov_b32 vcc_lo, s0
	s_delay_alu instid0(VALU_DEP_2) | instskip(NEXT) | instid1(VALU_DEP_2)
	v_div_fmas_f32 v1, v1, v3, v7
	v_div_fixup_f32 v0, v0, 0xc0a00000, v115
	s_delay_alu instid0(VALU_DEP_2) | instskip(NEXT) | instid1(VALU_DEP_2)
	v_div_fixup_f32 v1, v1, 0xc0400000, v115
	v_add_f32_e32 v0, 0.5, v0
	s_delay_alu instid0(VALU_DEP_2)
	v_add_f32_e32 v14, 1.0, v1
.LBB0_319:
	s_or_b32 exec_lo, exec_lo, s3
	v_mov_b32_e32 v15, 0
	v_mov_b32_e32 v13, 0
	;; [unrolled: 1-line block ×3, first 2 shown]
.LBB0_320:
	s_or_b32 exec_lo, exec_lo, s2
.LBB0_321:
	s_delay_alu instid0(SALU_CYCLE_1) | instskip(NEXT) | instid1(SALU_CYCLE_1)
	s_or_b32 exec_lo, exec_lo, s1
	s_mov_b32 s0, exec_lo
	scratch_store_b32 off, v14, s32
	v_cmpx_lt_i32_e32 1, v114
	s_cbranch_execz .LBB0_323
; %bb.322:
	scratch_store_b32 off, v15, s32 offset:4
.LBB0_323:
	s_or_b32 exec_lo, exec_lo, s0
	v_and_b32_e32 v1, -2, v114
	s_mov_b32 s0, s4
	s_mov_b32 s1, exec_lo
                                        ; implicit-def: $vgpr117
	s_delay_alu instid0(VALU_DEP_1)
	v_cmpx_eq_u32_e32 4, v1
; %bb.324:
	v_or_b32_e64 v117, 8, s32
	s_or_b32 s0, s4, exec_lo
; %bb.325:
	s_or_b32 exec_lo, exec_lo, s1
	s_delay_alu instid0(SALU_CYCLE_1) | instskip(SKIP_1) | instid1(SALU_CYCLE_1)
	s_and_not1_b32 s1, s4, exec_lo
	s_and_b32 s0, s0, exec_lo
                                        ; implicit-def: $vgpr15_vgpr16_vgpr17_vgpr18_vgpr19_vgpr20_vgpr21
                                        ; implicit-def: $vgpr19_vgpr20_vgpr21_vgpr22_vgpr23_vgpr24_vgpr25
	s_or_b32 s4, s1, s0
	s_or_b32 exec_lo, exec_lo, s5
	s_and_saveexec_b32 s0, s4
	s_cbranch_execnz .LBB0_45
	s_branch .LBB0_46
.LBB0_326:
	s_and_not1_saveexec_b32 s1, s7
	s_cbranch_execz .LBB0_41
.LBB0_327:
	v_cmp_ne_u32_e32 vcc_lo, 3, v64
	s_and_not1_b32 s0, s0, exec_lo
                                        ; implicit-def: $vgpr0_vgpr1_vgpr2_vgpr3_vgpr4_vgpr5_vgpr6
	s_mov_b32 s6, exec_lo
                                        ; implicit-def: $vgpr6_vgpr7_vgpr8_vgpr9_vgpr10_vgpr11_vgpr12
                                        ; implicit-def: $vgpr11_vgpr12_vgpr13_vgpr14_vgpr15_vgpr16_vgpr17
                                        ; implicit-def: $vgpr23
                                        ; implicit-def: $vgpr116
                                        ; implicit-def: $vgpr15_vgpr16_vgpr17_vgpr18_vgpr19_vgpr20_vgpr21
	s_and_b32 s2, vcc_lo, exec_lo
	s_delay_alu instid0(SALU_CYCLE_1)
	s_or_b32 s0, s0, s2
	s_or_b32 exec_lo, exec_lo, s1
	s_and_saveexec_b32 s1, s0
	s_cbranch_execnz .LBB0_42
.LBB0_328:
	s_or_b32 exec_lo, exec_lo, s1
	s_and_saveexec_b32 s7, s6
	s_cbranch_execz .LBB0_43
.LBB0_329:
	s_mov_b32 s0, exec_lo
                                        ; implicit-def: $vgpr116
                                        ; implicit-def: $vgpr21
                                        ; implicit-def: $vgpr18
	v_cmpx_ge_f32_e32 0x34a10fb0, v115
	s_xor_b32 s0, exec_lo, s0
                                        ; implicit-def: $vgpr0_vgpr1_vgpr2_vgpr3_vgpr4_vgpr5_vgpr6
                                        ; implicit-def: $vgpr6_vgpr7_vgpr8_vgpr9_vgpr10_vgpr11_vgpr12
                                        ; implicit-def: $vgpr11_vgpr12_vgpr13_vgpr14_vgpr15_vgpr16_vgpr17
	s_cbranch_execz .LBB0_331
; %bb.330:
	s_mov_b32 s1, 0xbb863b96
	s_mov_b32 s2, 0xbd37ded9
	v_fmaak_f32 v0, s1, v115, 0x3d0e9f4f
	v_fmaak_f32 v7, s2, v115, 0x3ec35cc6
	s_mov_b32 s1, 0xbe514b60
	s_mov_b32 s2, 0xbfb26435
	v_fmaak_f32 v13, s1, v115, 0x3fde6016
	v_fmaak_f32 v18, s2, v115, 0x413d8a78
	;; [unrolled: 4-line block ×4, first 2 shown]
                                        ; implicit-def: $vgpr115
.LBB0_331:
	s_and_not1_saveexec_b32 s6, s0
	s_cbranch_execz .LBB0_365
; %bb.332:
	s_mov_b32 s0, exec_lo
                                        ; implicit-def: $vgpr116
                                        ; implicit-def: $vgpr21
                                        ; implicit-def: $vgpr18
	v_cmpx_ge_f32_e32 1.0, v115
	s_xor_b32 s0, exec_lo, s0
                                        ; implicit-def: $vgpr0_vgpr1_vgpr2_vgpr3_vgpr4_vgpr5_vgpr6
                                        ; implicit-def: $vgpr6_vgpr7_vgpr8_vgpr9_vgpr10_vgpr11_vgpr12
                                        ; implicit-def: $vgpr11_vgpr12_vgpr13_vgpr14_vgpr15_vgpr16_vgpr17
	s_cbranch_execz .LBB0_334
; %bb.333:
	s_mov_b32 s2, 0x30f3a70b
	s_mov_b32 s1, 0xaf56bec5
	v_fmaak_f32 v1, s2, v115, 0x3310894f
	v_fmaak_f32 v0, s1, v115, 0x31b29714
	s_mov_b32 s1, 0xb2a2d38f
	s_mov_b32 s8, 0x31abae9b
	v_fmaak_f32 v2, s1, v115, 0x34a521e7
	v_fmaak_f32 v1, v115, v1, 0xb48ab230
	;; [unrolled: 1-line block ×3, first 2 shown]
	s_mov_b32 s2, 0xb18d7751
	s_mov_b32 s3, 0xb312c10a
	v_fmaak_f32 v2, v115, v2, 0x35aa969a
	v_fmaak_f32 v1, v115, v1, 0xb73eaa1c
	v_fmaak_f32 v3, s2, v115, 0x338ca700
	v_fmaak_f32 v4, s3, v115, 0x35082932
	v_fmaak_f32 v5, v115, v5, 0x3560631c
	v_fmaak_f32 v2, v115, v2, 0xb9149d52
	v_fmaak_f32 v1, v115, v1, 0xb8a5ffff
	v_fmaak_f32 v3, v115, v3, 0xb5414923
	v_fmaak_f32 v4, v115, v4, 0xb6a8559c
	s_mov_b32 s1, 0xb244f74c
	v_fmaak_f32 v2, v115, v2, 0x3b537bba
	v_fmaak_f32 v1, v115, v1, 0x3c2a1bb5
	;; [unrolled: 1-line block ×4, first 2 shown]
	s_mov_b32 s2, 0xb371075f
	v_fmaak_f32 v2, v115, v2, 0xbd37ded9
	v_fmaak_f32 v1, v115, v1, 0xbe514b60
	;; [unrolled: 1-line block ×43, first 2 shown]
                                        ; implicit-def: $vgpr115
.LBB0_334:
	s_and_not1_saveexec_b32 s8, s0
	s_cbranch_execz .LBB0_364
; %bb.335:
	s_mov_b32 s0, exec_lo
                                        ; implicit-def: $vgpr116
                                        ; implicit-def: $vgpr21
                                        ; implicit-def: $vgpr18
	v_cmpx_ge_f32_e32 0x40a00000, v115
	s_xor_b32 s0, exec_lo, s0
                                        ; implicit-def: $vgpr0_vgpr1_vgpr2_vgpr3_vgpr4_vgpr5_vgpr6
                                        ; implicit-def: $vgpr6_vgpr7_vgpr8_vgpr9_vgpr10_vgpr11_vgpr12
                                        ; implicit-def: $vgpr11_vgpr12_vgpr13_vgpr14_vgpr15_vgpr16_vgpr17
	s_cbranch_execz .LBB0_337
; %bb.336:
	v_add_f32_e32 v1, 0xc0400000, v115
	s_mov_b32 s2, 0x2a18ee80
	s_mov_b32 s3, 0x2b0d8684
	;; [unrolled: 1-line block ×4, first 2 shown]
	v_fmaak_f32 v2, s2, v1, 0xac21b027
	v_fmaak_f32 v3, s3, v1, 0x2d3d0c80
	;; [unrolled: 1-line block ×4, first 2 shown]
	s_mov_b32 s3, 0xa883d0e0
	v_fmaak_f32 v2, v1, v2, 0xac867503
	v_fmaak_f32 v3, v1, v3, 0xaf22fa6a
	;; [unrolled: 1-line block ×13, first 2 shown]
	s_mov_b32 s2, 0xa951c74e
	v_fmaak_f32 v5, v1, v5, 0x2e3e145e
	v_fmaak_f32 v2, v1, v2, 0x3280eba4
	v_fmaak_f32 v3, v1, v3, 0x350a7e69
	v_fmaak_f32 v4, s2, v1, 0x2b558be6
	v_fmaak_f32 v6, v1, v6, 0x2fb566f3
	s_mov_b32 s1, 0xa6d61ce4
	v_fmaak_f32 v2, v1, v2, 0x366a1bcb
	v_fmaak_f32 v3, v1, v3, 0xb71fc8c5
	v_fmaak_f32 v0, s1, v1, 0xaa160d59
	s_mov_b32 s1, 0xab98b6fb
	v_fmaak_f32 v4, v1, v4, 0xad50b625
	v_fmaak_f32 v2, v1, v2, 0xb8e3f2be
	v_fmaak_f32 v3, v1, v3, 0xb963125a
	v_fmaak_f32 v5, v1, v5, 0xb01bf217
	v_fmaak_f32 v6, v1, v6, 0xb184c012
	v_fmaak_f32 v0, v1, v0, 0x2c8f262f
	v_fmaak_f32 v2, v1, v2, 0x3b0858d0
	v_fmaak_f32 v3, v1, v3, 0x3c1409b2
	v_fmaak_f32 v4, v1, v4, 0x2f4cc410
	v_fmaak_f32 v5, v1, v5, 0x31f0bc08
	v_fmaak_f32 v6, v1, v6, 0x3332c8ea
	v_fmaak_f32 v2, v1, v2, 0xbcee8e49
	v_fmaak_f32 v3, v1, v3, 0xbe14ff63
	v_fmaak_f32 v0, v1, v0, 0xaec98007
	v_fmaak_f32 v4, v1, v4, 0xb1405f8e
	v_fmaak_f32 v5, v1, v5, 0xb3ae6133
	v_fmaak_f32 v7, v1, v2, 0x3e8b67d3
	v_fmaak_f32 v2, v1, v8, 0x300a0690
	v_fmaak_f32 v13, v1, v3, 0x3f9b7470
	v_fmaak_f32 v3, s1, v1, 0x2e8d10d0
	v_fmaak_f32 v6, v1, v6, 0xb4dbd425
	v_fmaak_f32 v0, v1, v0, 0x310ca805
	v_fmaak_f32 v2, v1, v2, 0xb1be86c1
	v_fmaak_f32 v4, v1, v4, 0x33323270
	v_fmaak_f32 v3, v1, v3, 0x304f52d5
	v_fmaak_f32 v5, v1, v5, 0x356b8f5e
	v_fmaak_f32 v6, v1, v6, 0x367449f8
	v_fmaak_f32 v2, v1, v2, 0x336e8c7e
	v_fmaak_f32 v0, v1, v0, 0xb32d1eb9
	v_fmaak_f32 v3, v1, v3, 0xb118157a
	v_fmaak_f32 v4, v1, v4, 0xb51f472b
	v_fmaak_f32 v5, v1, v5, 0xb713467b
	v_fmaak_f32 v2, v1, v2, 0xb505f65e
	v_fmaak_f32 v6, v1, v6, 0xb7f2265f
	v_fmaak_f32 v3, v1, v3, 0xb41b809d
	v_fmaak_f32 v0, v1, v0, 0x3543cc7f
	v_fmaak_f32 v4, v1, v4, 0x37090acb
	v_fmaak_f32 v2, v1, v2, 0x36851802
	v_fmaak_f32 v5, v1, v5, 0x38a8b067
	v_fmaak_f32 v3, v1, v3, 0xb6034ffe
	v_fmaak_f32 v6, v1, v6, 0x3952418e
	v_fmaak_f32 v0, v1, v0, 0xb74e8ece
	v_fmaak_f32 v2, v1, v2, 0xb7e5b1a1
	v_fmaak_f32 v4, v1, v4, 0xb8e4911e
	v_fmaak_f32 v3, v1, v3, 0xb73452e0
	v_fmaak_f32 v5, v1, v5, 0xba2e1a4d
	v_fmaak_f32 v6, v1, v6, 0xba9bb3f2
	v_fmaak_f32 v2, v1, v2, 0x3927e264
	v_fmaak_f32 v0, v1, v0, 0x3945f7b2
	v_fmaak_f32 v3, v1, v3, 0x391c9710
	v_fmaak_f32 v4, v1, v4, 0x3ab947dc
	v_fmaak_f32 v5, v1, v5, 0x3b9dac6e
	v_fmaak_f32 v2, v1, v2, 0xba486ccb
	v_fmaak_f32 v6, v1, v6, 0x3bbc7d41
	v_fmaak_f32 v3, v1, v3, 0x3d47cca6
	v_fmaak_f32 v0, v1, v0, 0xbb25fa77
	v_fmaak_f32 v4, v1, v4, 0xbc99ac21
	v_fmaak_f32 v2, v1, v2, 0x3b385f59
	v_fmaak_f32 v5, v1, v5, 0xbcecbc0f
	v_fmaak_f32 v3, v1, v3, 0xbf8d8445
	v_fmaak_f32 v6, v1, v6, 0xbcab8a73
	v_fmaak_f32 v0, v1, v0, 0x3ccdc817
	v_fmaak_f32 v2, v1, v2, 0xbbeab17a
	v_fmaak_f32 v19, v1, v4, 0x3e946d99
	v_fmaak_f32 v18, v1, v3, 0x41018534
	v_fmaak_f32 v20, v1, v5, 0x3e1fff47
	v_fmaak_f32 v21, v1, v6, 0x3d46ce9d
	v_fmaak_f32 v116, v1, v2, 0x3c1e4838
                                        ; implicit-def: $vgpr115
.LBB0_337:
	s_and_not1_saveexec_b32 s9, s0
	s_cbranch_execz .LBB0_363
; %bb.338:
	s_mov_b32 s0, exec_lo
                                        ; implicit-def: $vgpr116
                                        ; implicit-def: $vgpr21
                                        ; implicit-def: $vgpr18
	v_cmpx_ge_f32_e32 0x41200000, v115
	s_xor_b32 s0, exec_lo, s0
                                        ; implicit-def: $vgpr0_vgpr1_vgpr2_vgpr3_vgpr4_vgpr5_vgpr6
                                        ; implicit-def: $vgpr6_vgpr7_vgpr8_vgpr9_vgpr10_vgpr11_vgpr12
                                        ; implicit-def: $vgpr11_vgpr12_vgpr13_vgpr14_vgpr15_vgpr16_vgpr17
	s_cbranch_execz .LBB0_340
; %bb.339:
	v_add_f32_e32 v1, 0xc0f00000, v115
	s_mov_b32 s1, 0x27a7407e
	s_mov_b32 s2, 0x290465b7
	;; [unrolled: 1-line block ×4, first 2 shown]
	v_fmaak_f32 v0, s3, v1, 0xa9901fe5
	v_fmaak_f32 v2, s1, v1, 0xa7e238da
	;; [unrolled: 1-line block ×3, first 2 shown]
	s_mov_b32 s2, 0xa38f9ef6
	s_mov_b32 s1, 0x253def64
	v_fmaak_f32 v0, v1, v0, 0xac3db225
	v_fmaak_f32 v2, v1, v2, 0x2ac2e816
	;; [unrolled: 1-line block ×18, first 2 shown]
	s_mov_b32 s10, 0xa8921ba1
	v_fmaak_f32 v6, v1, v6, 0xa9d97501
	v_fmaak_f32 v0, v1, v0, 0x34e85143
	;; [unrolled: 1-line block ×10, first 2 shown]
	s_mov_b32 s3, 0xa6ef395d
	v_fmaak_f32 v0, v1, v0, 0xb9857e40
	v_fmaak_f32 v2, v1, v2, 0x38b0c0c8
	;; [unrolled: 1-line block ×65, first 2 shown]
                                        ; implicit-def: $vgpr115
.LBB0_340:
	s_and_not1_saveexec_b32 s10, s0
	s_cbranch_execz .LBB0_362
; %bb.341:
                                        ; implicit-def: $vgpr116
                                        ; implicit-def: $vgpr21
                                        ; implicit-def: $vgpr18
	s_mov_b32 s0, exec_lo
	v_cmpx_ge_f32_e32 0x41700000, v115
	s_xor_b32 s1, exec_lo, s0
                                        ; implicit-def: $vgpr0_vgpr1_vgpr2_vgpr3_vgpr4_vgpr5_vgpr6
                                        ; implicit-def: $vgpr6_vgpr7_vgpr8_vgpr9_vgpr10_vgpr11_vgpr12
                                        ; implicit-def: $vgpr11_vgpr12_vgpr13_vgpr14_vgpr15_vgpr16_vgpr17
	s_cbranch_execz .LBB0_343
; %bb.342:
	v_div_scale_f32 v0, null, v115, v115, 0xbe405aee
	v_div_scale_f32 v3, vcc_lo, 0xbe405aee, v115, 0xbe405aee
	s_mov_b32 s3, 0x260d0261
	s_delay_alu instid0(VALU_DEP_2)
	v_rcp_f32_e32 v1, v0
	s_mov_b32 s2, 0x246437e5
	s_mov_b32 s11, 0x2989e793
	;; [unrolled: 1-line block ×5, first 2 shown]
	v_div_scale_f32 v8, s0, 0x3f490fdb, v115, 0x3f490fdb
	s_mov_b32 s15, 0xa7e03286
	v_mul_f32_e32 v7, 0xbfb8aa3b, v115
	s_waitcnt_depctr 0xfff
	v_fma_f32 v2, -v0, v1, 1.0
	v_rndne_f32_e32 v12, v7
	s_delay_alu instid0(VALU_DEP_2) | instskip(SKIP_1) | instid1(VALU_DEP_3)
	v_fmac_f32_e32 v1, v2, v1
	v_fma_f32 v13, 0xbfb8aa3b, v115, -v7
	v_sub_f32_e32 v7, v7, v12
	s_delay_alu instid0(VALU_DEP_3) | instskip(NEXT) | instid1(VALU_DEP_3)
	v_mul_f32_e32 v2, v3, v1
	v_fmamk_f32 v13, v115, 0xb2a5705f, v13
	v_cvt_i32_f32_e32 v12, v12
	s_delay_alu instid0(VALU_DEP_3) | instskip(NEXT) | instid1(VALU_DEP_3)
	v_fma_f32 v4, -v0, v2, v3
	v_add_f32_e32 v7, v7, v13
	s_delay_alu instid0(VALU_DEP_2) | instskip(NEXT) | instid1(VALU_DEP_2)
	v_fmac_f32_e32 v2, v4, v1
	v_exp_f32_e32 v7, v7
	s_delay_alu instid0(VALU_DEP_1) | instskip(NEXT) | instid1(VALU_DEP_1)
	v_fma_f32 v0, -v0, v2, v3
	v_div_fmas_f32 v0, v0, v1, v2
	s_waitcnt_depctr 0xfff
	v_ldexp_f32 v7, v7, v12
	v_div_fixup_f32 v0, v0, v115, 0xbe405aee
	s_delay_alu instid0(VALU_DEP_1) | instskip(NEXT) | instid1(VALU_DEP_1)
	v_add_f32_e32 v0, 0x3e6b6fc1, v0
	v_div_scale_f32 v1, null, v115, v115, v0
	v_div_scale_f32 v4, vcc_lo, v0, v115, v0
	s_delay_alu instid0(VALU_DEP_2) | instskip(SKIP_2) | instid1(VALU_DEP_1)
	v_rcp_f32_e32 v2, v1
	s_waitcnt_depctr 0xfff
	v_fma_f32 v3, -v1, v2, 1.0
	v_dual_fmac_f32 v2, v3, v2 :: v_dual_add_f32 v3, 0xc1480000, v115
	s_delay_alu instid0(VALU_DEP_1) | instskip(NEXT) | instid1(VALU_DEP_2)
	v_fmaak_f32 v9, s3, v3, 0x283fa7d8
	v_dual_mul_f32 v5, v4, v2 :: v_dual_fmaak_f32 v10, s13, v3, 0xa455b366
	s_delay_alu instid0(VALU_DEP_1) | instskip(NEXT) | instid1(VALU_DEP_1)
	v_fma_f32 v6, -v1, v5, v4
	v_fmac_f32_e32 v5, v6, v2
	v_div_scale_f32 v6, null, v115, v115, 0x3f490fdb
	s_delay_alu instid0(VALU_DEP_2) | instskip(NEXT) | instid1(VALU_DEP_2)
	v_fma_f32 v1, -v1, v5, v4
	v_rcp_f32_e32 v14, v6
	v_fmaak_f32 v4, s2, v3, 0x26679cea
	s_delay_alu instid0(VALU_DEP_2) | instskip(SKIP_1) | instid1(VALU_DEP_2)
	v_div_fmas_f32 v1, v1, v2, v5
	v_fmaak_f32 v2, s11, v3, 0x29fcf12e
	v_div_fixup_f32 v0, v1, v115, v0
	s_waitcnt_depctr 0xfff
	v_fma_f32 v13, -v6, v14, 1.0
	v_fmaak_f32 v11, s14, v3, 0x262b4edc
	v_add_f32_e32 v0, 0xbeff74bd, v0
	s_delay_alu instid0(VALU_DEP_3) | instskip(SKIP_1) | instid1(VALU_DEP_3)
	v_fmac_f32_e32 v14, v13, v14
	v_fmaak_f32 v4, v3, v4, 0xa7c9bad2
	v_div_scale_f32 v15, null, v115, v115, v0
	v_div_scale_f32 v18, vcc_lo, v0, v115, v0
	s_delay_alu instid0(VALU_DEP_2) | instskip(SKIP_2) | instid1(VALU_DEP_1)
	v_rcp_f32_e32 v16, v15
	s_waitcnt_depctr 0xfff
	v_fma_f32 v17, -v15, v16, 1.0
	v_dual_fmaak_f32 v5, s12, v3, 0xa954e934 :: v_dual_fmac_f32 v16, v17, v16
	v_fmaak_f32 v2, v3, v2, 0xad1f3a81
	v_mul_f32_e32 v17, v8, v14
	s_delay_alu instid0(VALU_DEP_3) | instskip(NEXT) | instid1(VALU_DEP_2)
	v_mul_f32_e32 v13, v18, v16
	v_fma_f32 v20, -v6, v17, v8
	v_fmaak_f32 v4, v3, v4, 0xaa1b39e8
	s_delay_alu instid0(VALU_DEP_3) | instskip(NEXT) | instid1(VALU_DEP_2)
	v_fma_f32 v19, -v15, v13, v18
	v_dual_fmac_f32 v17, v20, v14 :: v_dual_fmaak_f32 v4, v3, v4, 0x2b45373d
	s_delay_alu instid0(VALU_DEP_2) | instskip(NEXT) | instid1(VALU_DEP_2)
	v_fmac_f32_e32 v13, v19, v16
	v_fma_f32 v6, -v6, v17, v8
	s_delay_alu instid0(VALU_DEP_3) | instskip(NEXT) | instid1(VALU_DEP_3)
	v_fmaak_f32 v4, v3, v4, 0x2d656312
	v_fma_f32 v15, -v15, v13, v18
	s_delay_alu instid0(VALU_DEP_2) | instskip(NEXT) | instid1(VALU_DEP_2)
	v_fmaak_f32 v4, v3, v4, 0x2eb17559
	v_div_fmas_f32 v8, v15, v16, v13
	s_mov_b32 vcc_lo, s0
	v_div_fmas_f32 v6, v6, v14, v17
	s_delay_alu instid0(VALU_DEP_3) | instskip(NEXT) | instid1(VALU_DEP_3)
	v_fmaak_f32 v4, v3, v4, 0xb1b2e456
	v_div_fixup_f32 v0, v8, v115, v0
	s_delay_alu instid0(VALU_DEP_3) | instskip(NEXT) | instid1(VALU_DEP_3)
	v_div_fixup_f32 v6, v6, v115, 0x3f490fdb
	v_fmaak_f32 v4, v3, v4, 0x33a5f4cf
	s_delay_alu instid0(VALU_DEP_3) | instskip(NEXT) | instid1(VALU_DEP_3)
	v_add_f32_e32 v0, 0xb7b7d95a, v0
	v_mul_f32_e32 v13, 0x4f800000, v6
	v_cmp_gt_f32_e32 vcc_lo, 0xf800000, v6
	v_fmaak_f32 v11, v3, v11, 0xa84ef2f0
	v_fmaak_f32 v4, v3, v4, 0xb5d8c750
	s_delay_alu instid0(VALU_DEP_2) | instskip(NEXT) | instid1(VALU_DEP_2)
	v_dual_cndmask_b32 v6, v6, v13 :: v_dual_fmaak_f32 v11, v3, v11, 0x2a53d0e5
	v_fmaak_f32 v4, v3, v4, 0x382e1949
	s_delay_alu instid0(VALU_DEP_2) | instskip(SKIP_1) | instid1(VALU_DEP_3)
	v_sqrt_f32_e32 v13, v6
	v_fmaak_f32 v1, s15, v3, 0x29ea7905
	v_fmaak_f32 v11, v3, v11, 0xac29d6bc
	;; [unrolled: 1-line block ×4, first 2 shown]
	s_delay_alu instid0(VALU_DEP_3) | instskip(SKIP_4) | instid1(VALU_DEP_3)
	v_fmaak_f32 v11, v3, v11, 0x2e144ec8
	s_waitcnt_depctr 0xfff
	v_add_nc_u32_e32 v15, 1, v13
	v_dual_fmaak_f32 v11, v3, v11, 0xb0079fdc :: v_dual_add_nc_u32 v14, -1, v13
	v_fmaak_f32 v1, v3, v1, 0xab4098d2
	v_fma_f32 v17, -v15, v13, v6
	s_delay_alu instid0(VALU_DEP_3) | instskip(NEXT) | instid1(VALU_DEP_4)
	v_fma_f32 v16, -v14, v13, v6
	v_fmaak_f32 v11, v3, v11, 0x31d229b4
	s_delay_alu instid0(VALU_DEP_4) | instskip(NEXT) | instid1(VALU_DEP_3)
	v_fmaak_f32 v1, v3, v1, 0x2d8ab352
	v_cmp_ge_f32_e64 s0, 0, v16
	s_delay_alu instid0(VALU_DEP_3) | instskip(NEXT) | instid1(VALU_DEP_3)
	v_fmaak_f32 v11, v3, v11, 0xb38fdfc1
	v_fmaak_f32 v1, v3, v1, 0xafe71d52
	s_delay_alu instid0(VALU_DEP_3) | instskip(SKIP_1) | instid1(VALU_DEP_4)
	v_cndmask_b32_e64 v13, v13, v14, s0
	v_cmp_lt_f32_e64 s0, 0, v17
	v_fmaak_f32 v11, v3, v11, 0x3549f72a
	s_delay_alu instid0(VALU_DEP_4) | instskip(NEXT) | instid1(VALU_DEP_3)
	v_fmaak_f32 v1, v3, v1, 0x31d8074a
	v_cndmask_b32_e64 v13, v13, v15, s0
	v_cmp_nlt_f32_e64 s0, 0x42ce8ed0, v115
	s_delay_alu instid0(VALU_DEP_4) | instskip(NEXT) | instid1(VALU_DEP_4)
	v_fmaak_f32 v11, v3, v11, 0xb707adc3
	v_fmaak_f32 v1, v3, v1, 0xb3b26518
	s_delay_alu instid0(VALU_DEP_4) | instskip(SKIP_3) | instid1(VALU_DEP_4)
	v_mul_f32_e32 v12, 0x37800000, v13
	v_fmaak_f32 v9, v3, v9, 0xa975471b
	v_cndmask_b32_e64 v7, 0, v7, s0
	v_fmaak_f32 v11, v3, v11, 0x3890691d
	v_dual_fmaak_f32 v1, v3, v1, 0x35b6103b :: v_dual_cndmask_b32 v8, v13, v12
	v_cmp_ngt_f32_e32 vcc_lo, 0xc2b17218, v115
	v_fmaak_f32 v9, v3, v9, 0xabe31927
                                        ; implicit-def: $vgpr115
	s_delay_alu instid0(VALU_DEP_3) | instskip(SKIP_3) | instid1(VALU_DEP_4)
	v_fmaak_f32 v1, v3, v1, 0xb7ae89be
	v_cndmask_b32_e32 v7, 0x7f800000, v7, vcc_lo
	v_cmp_class_f32_e64 vcc_lo, v6, 0x260
	v_fmaak_f32 v5, v3, v5, 0xad3042c6
	v_fmaak_f32 v1, v3, v1, 0x3984541e
	v_dual_fmaak_f32 v9, v3, v9, 0x2c8993c3 :: v_dual_cndmask_b32 v6, v8, v6
	v_fmaak_f32 v8, v3, v11, 0xb9f4e0b0
	s_delay_alu instid0(VALU_DEP_4) | instskip(NEXT) | instid1(VALU_DEP_4)
	v_fmaak_f32 v5, v3, v5, 0x2e859230
	v_fmaak_f32 v1, v3, v1, 0xbb40fe3a
	s_delay_alu instid0(VALU_DEP_4)
	v_fmaak_f32 v9, v3, v9, 0x2f51b0c7
	v_fmac_f32_e32 v6, v7, v0
	v_fmaak_f32 v21, v3, v8, 0x3bb1b48b
	v_fmaak_f32 v10, v3, v10, 0xa820fa09
	;; [unrolled: 1-line block ×5, first 2 shown]
	s_delay_alu instid0(VALU_DEP_4) | instskip(NEXT) | instid1(VALU_DEP_4)
	v_fmaak_f32 v10, v3, v10, 0x2a06836f
	v_fmaak_f32 v5, v3, v5, 0xb2acd15c
	s_delay_alu instid0(VALU_DEP_3) | instskip(NEXT) | instid1(VALU_DEP_3)
	v_fmaak_f32 v9, v3, v9, 0xb38046bb
	v_fmaak_f32 v10, v3, v10, 0xabccc660
	s_delay_alu instid0(VALU_DEP_3) | instskip(NEXT) | instid1(VALU_DEP_3)
	;; [unrolled: 3-line block ×6, first 2 shown]
	v_fmaak_f32 v10, v3, v10, 0x30e10a54
	v_fmaak_f32 v5, v3, v5, 0xbacfc73a
	s_delay_alu instid0(VALU_DEP_2) | instskip(NEXT) | instid1(VALU_DEP_1)
	v_fmaak_f32 v10, v3, v10, 0xb26f354d
	v_fmaak_f32 v10, v3, v10, 0x33e4c403
	s_delay_alu instid0(VALU_DEP_1) | instskip(NEXT) | instid1(VALU_DEP_1)
	v_fmaak_f32 v10, v3, v10, 0xb54352b2
	v_fmaak_f32 v10, v3, v10, 0x368a4c39
	s_delay_alu instid0(VALU_DEP_1) | instskip(NEXT) | instid1(VALU_DEP_1)
	v_fmaak_f32 v10, v3, v10, 0xb7928169
	v_fmaak_f32 v116, v3, v10, 0x38b2519b
	;; [unrolled: 1-line block ×3, first 2 shown]
	s_delay_alu instid0(VALU_DEP_1) | instskip(NEXT) | instid1(VALU_DEP_1)
	v_fmaak_f32 v2, v3, v2, 0x30e44339
	v_fmaak_f32 v2, v3, v2, 0x2ff756a0
	s_delay_alu instid0(VALU_DEP_1) | instskip(NEXT) | instid1(VALU_DEP_1)
	v_fmaak_f32 v2, v3, v2, 0xb487446d
	v_fmaak_f32 v2, v3, v2, 0x36a703eb
	;; [unrolled: 3-line block ×3, first 2 shown]
	v_dual_fmaak_f32 v2, v3, v5, 0x3ce5d16f :: v_dual_sub_f32 v5, v6, v116
	v_fmaak_f32 v6, v3, v9, 0xbc0e48f3
	s_delay_alu instid0(VALU_DEP_3) | instskip(NEXT) | instid1(VALU_DEP_3)
	v_fmaak_f32 v8, v3, v0, 0xbd23908f
	v_dual_fmaak_f32 v2, v3, v2, 0xbe8ed30c :: v_dual_sub_f32 v1, v5, v21
	v_fmaak_f32 v0, v3, v4, 0x3c3b1679
	s_delay_alu instid0(VALU_DEP_4) | instskip(NEXT) | instid1(VALU_DEP_4)
	v_fmaak_f32 v7, v3, v6, 0x3ded362a
	v_fmaak_f32 v13, v3, v8, 0x3eddef6a
	s_delay_alu instid0(VALU_DEP_4)
	v_dual_fmaak_f32 v18, v3, v2, 0x3fea0796 :: v_dual_sub_f32 v19, v1, v20
.LBB0_343:
	s_and_not1_saveexec_b32 s11, s1
	s_cbranch_execz .LBB0_361
; %bb.344:
                                        ; implicit-def: $vgpr116
                                        ; implicit-def: $vgpr21
                                        ; implicit-def: $vgpr18
	s_mov_b32 s0, exec_lo
	v_cmpx_ge_f32_e32 0x41a00000, v115
	s_xor_b32 s2, exec_lo, s0
                                        ; implicit-def: $vgpr0_vgpr1_vgpr2_vgpr3_vgpr4_vgpr5_vgpr6
                                        ; implicit-def: $vgpr6_vgpr7_vgpr8_vgpr9_vgpr10_vgpr11_vgpr12
                                        ; implicit-def: $vgpr11_vgpr12_vgpr13_vgpr14_vgpr15_vgpr16_vgpr17
	s_cbranch_execz .LBB0_346
; %bb.345:
	v_div_scale_f32 v0, null, v115, v115, 0x3f490fdb
	v_div_scale_f32 v1, vcc_lo, 0x3f490fdb, v115, 0x3f490fdb
	v_add_f32_e32 v2, 0xc18c0000, v115
	s_delay_alu instid0(VALU_DEP_3)
	v_rcp_f32_e32 v3, v0
	s_mov_b32 s14, 0xa15f6467
	s_mov_b32 s1, 0x244964a5
	v_div_scale_f32 v4, null, v115, v115, 0x3e48f136
	s_mov_b32 s13, 0xa7c3e343
	s_mov_b32 s15, 0xa47fb206
	v_div_scale_f32 v6, s0, 0x3e48f136, v115, 0x3e48f136
	v_fmaak_f32 v11, s15, v2, 0x259aec42
	s_waitcnt_depctr 0xfff
	v_fma_f32 v5, -v0, v3, 1.0
	v_rcp_f32_e32 v14, v4
	s_mov_b32 s16, 0xa55706df
	s_mov_b32 s3, 0x260fcd4b
	v_fmaak_f32 v11, v2, v11, 0x28730492
	v_dual_fmac_f32 v3, v5, v3 :: v_dual_fmaak_f32 v10, s14, v2, 0x230b0101
	v_fmaak_f32 v7, s1, v2, 0xa5021e92
	v_fmaak_f32 v13, s16, v2, 0x26a8205b
	s_mov_b32 s12, 0x2709fd34
	s_delay_alu instid0(VALU_DEP_3) | instskip(SKIP_1) | instid1(VALU_DEP_3)
	v_mul_f32_e32 v12, v1, v3
	v_fmaak_f32 v10, v2, v10, 0xa5056e00
	v_fmaak_f32 v13, v2, v13, 0x28e6eb32
	s_delay_alu instid0(VALU_DEP_3) | instskip(NEXT) | instid1(VALU_DEP_1)
	v_fma_f32 v15, -v0, v12, v1
	v_dual_fmaak_f32 v9, s13, v2, 0xa9fd4a43 :: v_dual_fmac_f32 v12, v15, v3
	s_delay_alu instid0(VALU_DEP_1) | instskip(NEXT) | instid1(VALU_DEP_1)
	v_fma_f32 v0, -v0, v12, v1
	v_div_fmas_f32 v0, v0, v3, v12
	v_fmaak_f32 v3, v2, v11, 0xaa8d2834
	v_fma_f32 v11, -v4, v14, 1.0
	v_fmaak_f32 v7, v2, v7, 0xa7dd9259
	s_mov_b32 vcc_lo, s0
	v_div_fixup_f32 v0, v0, v115, 0x3f490fdb
	s_delay_alu instid0(VALU_DEP_2) | instskip(NEXT) | instid1(VALU_DEP_2)
	v_dual_fmac_f32 v14, v11, v14 :: v_dual_fmaak_f32 v7, v2, v7, 0x29830f5a
	v_mul_f32_e32 v11, 0x4f800000, v0
	v_cmp_gt_f32_e64 s1, 0xf800000, v0
	s_delay_alu instid0(VALU_DEP_3) | instskip(NEXT) | instid1(VALU_DEP_4)
	v_mul_f32_e32 v12, v6, v14
	v_fmaak_f32 v7, v2, v7, 0x2af781ba
	s_delay_alu instid0(VALU_DEP_3) | instskip(NEXT) | instid1(VALU_DEP_3)
	v_cndmask_b32_e64 v0, v0, v11, s1
	v_fma_f32 v11, -v4, v12, v6
	v_fmaak_f32 v9, v2, v9, 0x2c46e7a4
	s_delay_alu instid0(VALU_DEP_2) | instskip(NEXT) | instid1(VALU_DEP_2)
	v_dual_fmaak_f32 v7, v2, v7, 0xad5ab96b :: v_dual_fmac_f32 v12, v11, v14
	v_fmaak_f32 v1, v2, v9, 0xad5ed8a6
	v_fmaak_f32 v9, v2, v10, 0x272dbeb2
	v_fmaak_f32 v10, v2, v13, 0xaafd3c12
	v_sqrt_f32_e32 v13, v0
	v_fmaak_f32 v7, v2, v7, 0x2e9392a4
	v_fma_f32 v4, -v4, v12, v6
	s_delay_alu instid0(VALU_DEP_2) | instskip(NEXT) | instid1(VALU_DEP_2)
	v_fmaak_f32 v6, v2, v7, 0x2f8610fa
	v_div_fmas_f32 v4, v4, v14, v12
	s_waitcnt_depctr 0xfff
	v_dual_fmaak_f32 v8, s3, v2, 0xa5964d55 :: v_dual_add_nc_u32 v7, -1, v13
	v_add_nc_u32_e32 v11, 1, v13
	v_div_fixup_f32 v4, v4, v115, 0x3e48f136
	v_fmaak_f32 v9, v2, v9, 0xa92235dd
	s_delay_alu instid0(VALU_DEP_4)
	v_fma_f32 v12, -v7, v13, v0
	v_fmaak_f32 v3, v2, v3, 0x2c08d21c
	v_fma_f32 v14, -v11, v13, v0
	v_add_f32_e32 v4, 0xbefe708c, v4
	v_fmaak_f32 v9, v2, v9, 0x2ae5cdfe
	v_cmp_ge_f32_e32 vcc_lo, 0, v12
	v_fmaak_f32 v8, v2, v8, 0xa9af14ba
	v_fmaak_f32 v3, v2, v3, 0xad646058
	;; [unrolled: 1-line block ×4, first 2 shown]
	v_cndmask_b32_e32 v7, v13, v7, vcc_lo
	v_cmp_lt_f32_e32 vcc_lo, 0, v14
	v_fmaak_f32 v3, v2, v3, 0x2fc066fe
	v_fmaak_f32 v1, v2, v1, 0x32226ef1
	;; [unrolled: 1-line block ×3, first 2 shown]
	v_dual_fmaak_f32 v6, v2, v6, 0x328feebe :: v_dual_cndmask_b32 v7, v7, v11
	v_div_scale_f32 v11, null, v115, v115, v4
	v_cmp_class_f32_e64 vcc_lo, v0, 0x260
	s_delay_alu instid0(VALU_DEP_4) | instskip(NEXT) | instid1(VALU_DEP_4)
	v_fmaak_f32 v9, v2, v9, 0xb02eaacd
	v_mul_f32_e32 v12, 0x37800000, v7
	s_delay_alu instid0(VALU_DEP_4)
	v_rcp_f32_e32 v13, v11
	v_fmaak_f32 v3, v2, v3, 0xb214fef8
	v_fmaak_f32 v1, v2, v1, 0xb37bf545
	;; [unrolled: 1-line block ×3, first 2 shown]
	v_cndmask_b32_e64 v7, v7, v12, s1
	v_mul_f32_e32 v12, 0xbfb8aa3b, v115
	v_fmaak_f32 v3, v2, v3, 0x340d11c4
	v_fmaak_f32 v1, v2, v1, 0xb5aceb61
	s_delay_alu instid0(VALU_DEP_4) | instskip(NEXT) | instid1(TRANS32_DEP_1)
	v_dual_fmaak_f32 v9, v2, v9, 0xb371f7b0 :: v_dual_cndmask_b32 v0, v7, v0
	v_fma_f32 v7, -v11, v13, 1.0
	v_fmaak_f32 v8, v2, v8, 0x2b224d2b
	v_rndne_f32_e32 v14, v12
	v_fma_f32 v15, 0xbfb8aa3b, v115, -v12
	v_fmaak_f32 v9, v2, v9, 0x34bfaa71
	v_fmac_f32_e32 v13, v7, v13
	v_div_scale_f32 v7, vcc_lo, v4, v115, v4
	v_fmaak_f32 v5, s12, v2, 0x28861042
	v_dual_sub_f32 v12, v12, v14 :: v_dual_fmamk_f32 v15, v115, 0xb2a5705f, v15
	s_delay_alu instid0(VALU_DEP_3) | instskip(NEXT) | instid1(VALU_DEP_3)
	v_dual_mul_f32 v16, v7, v13 :: v_dual_fmaak_f32 v3, v2, v3, 0xb5b798ef
	v_fmaak_f32 v5, v2, v5, 0xaaf30573
	s_delay_alu instid0(VALU_DEP_3) | instskip(NEXT) | instid1(VALU_DEP_3)
	v_dual_fmaak_f32 v1, v2, v1, 0x38392473 :: v_dual_add_f32 v12, v12, v15
	v_fma_f32 v17, -v11, v16, v7
	s_delay_alu instid0(VALU_DEP_4) | instskip(NEXT) | instid1(VALU_DEP_4)
	v_fmaak_f32 v3, v2, v3, 0x3748009b
	v_fmaak_f32 v5, v2, v5, 0x2ba6fc04
	;; [unrolled: 1-line block ×3, first 2 shown]
	v_exp_f32_e32 v12, v12
	s_delay_alu instid0(VALU_DEP_3) | instskip(NEXT) | instid1(VALU_DEP_3)
	v_dual_fmac_f32 v16, v17, v13 :: v_dual_fmaak_f32 v3, v2, v3, 0xb91516ad
	v_fmaak_f32 v5, v2, v5, 0x2e4b015d
	v_fmaak_f32 v1, v2, v1, 0xba47af66
	;; [unrolled: 1-line block ×3, first 2 shown]
	s_delay_alu instid0(VALU_DEP_4)
	v_fma_f32 v7, -v11, v16, v7
	v_cvt_i32_f32_e32 v11, v14
	v_fmaak_f32 v5, v2, v5, 0xb0185ff0
	v_fmaak_f32 v21, v2, v3, 0x3b8734b0
	;; [unrolled: 1-line block ×3, first 2 shown]
	v_div_fmas_f32 v7, v7, v13, v16
	v_ldexp_f32 v11, v12, v11
	v_fmaak_f32 v5, v2, v5, 0x2fbfbfd3
	v_cmp_nlt_f32_e32 vcc_lo, 0x42ce8ed0, v115
	v_fmaak_f32 v6, v2, v6, 0xb9f5b4e6
	v_div_fixup_f32 v4, v7, v115, v4
	v_fmaak_f32 v1, v2, v1, 0xbdcfb058
	v_fmaak_f32 v5, v2, v5, 0xb13fdb72
	v_cndmask_b32_e32 v7, 0, v11, vcc_lo
	v_cmp_ngt_f32_e32 vcc_lo, 0xc2b17218, v115
	v_add_f32_e32 v4, 0xb87c50a3, v4
	v_fmaak_f32 v18, v2, v1, 0x3f746830
	v_fmaak_f32 v5, v2, v5, 0x360ca2af
                                        ; implicit-def: $vgpr115
	v_cndmask_b32_e32 v7, 0x7f800000, v7, vcc_lo
	s_delay_alu instid0(VALU_DEP_1) | instskip(NEXT) | instid1(VALU_DEP_1)
	v_dual_fmaak_f32 v5, v2, v5, 0xb88de000 :: v_dual_fmac_f32 v0, v7, v4
	v_fmaak_f32 v4, v2, v5, 0x3aad2f6d
	v_fmaak_f32 v5, v2, v9, 0xb6211849
	s_delay_alu instid0(VALU_DEP_2) | instskip(NEXT) | instid1(VALU_DEP_2)
	v_fmaak_f32 v4, v2, v4, 0xbca7fca6
	v_fmaak_f32 v116, v2, v5, 0x384f453d
	v_fmaak_f32 v10, v2, v10, 0x2bf86dd2
	s_delay_alu instid0(VALU_DEP_3) | instskip(NEXT) | instid1(VALU_DEP_2)
	v_fmaak_f32 v13, v2, v4, 0x3e937dbd
	v_fmaak_f32 v10, v2, v10, 0x2d1f1e53
	s_delay_alu instid0(VALU_DEP_1) | instskip(NEXT) | instid1(VALU_DEP_1)
	v_fmaak_f32 v10, v2, v10, 0x3009251a
	v_fmaak_f32 v10, v2, v10, 0xb2b6136a
	s_delay_alu instid0(VALU_DEP_1) | instskip(NEXT) | instid1(VALU_DEP_1)
	;; [unrolled: 3-line block ×4, first 2 shown]
	v_fmaak_f32 v20, v2, v10, 0x3d4be9ee
	v_sub_f32_e32 v0, v0, v20
	s_delay_alu instid0(VALU_DEP_1) | instskip(NEXT) | instid1(VALU_DEP_1)
	v_dual_fmaak_f32 v8, v2, v8, 0x2ce25495 :: v_dual_sub_f32 v5, v0, v21
	v_fmaak_f32 v8, v2, v8, 0xaf1975f0
	s_delay_alu instid0(VALU_DEP_2) | instskip(NEXT) | instid1(VALU_DEP_2)
	v_dual_fmaak_f32 v0, v2, v6, 0x3c08cd82 :: v_dual_sub_f32 v19, v5, v116
	v_fmaak_f32 v8, v2, v8, 0x3023ad2c
	s_delay_alu instid0(VALU_DEP_1) | instskip(NEXT) | instid1(VALU_DEP_1)
	v_fmaak_f32 v8, v2, v8, 0x3126a007
	v_fmaak_f32 v8, v2, v8, 0x3484de2d
	s_delay_alu instid0(VALU_DEP_1) | instskip(NEXT) | instid1(VALU_DEP_1)
	v_fmaak_f32 v8, v2, v8, 0xb74073be
	;; [unrolled: 3-line block ×3, first 2 shown]
	v_fmaak_f32 v7, v2, v3, 0x3da92b45
.LBB0_346:
	s_and_not1_saveexec_b32 s12, s2
	s_cbranch_execz .LBB0_360
; %bb.347:
                                        ; implicit-def: $vgpr116
                                        ; implicit-def: $vgpr21
                                        ; implicit-def: $vgpr18
	s_mov_b32 s0, exec_lo
	v_cmpx_ge_f32_e32 0x420c0000, v115
	s_xor_b32 s2, exec_lo, s0
                                        ; implicit-def: $vgpr0_vgpr1_vgpr2_vgpr3_vgpr4_vgpr5_vgpr6
                                        ; implicit-def: $vgpr6_vgpr7_vgpr8_vgpr9_vgpr10_vgpr11_vgpr12
                                        ; implicit-def: $vgpr11_vgpr12_vgpr13_vgpr14_vgpr15_vgpr16_vgpr17
	s_cbranch_execz .LBB0_353
; %bb.348:
	s_mov_b32 s0, exec_lo
                                        ; implicit-def: $vgpr1
	v_cmpx_ge_f32_e32 0x41c80000, v115
	s_xor_b32 s0, exec_lo, s0
	s_cbranch_execz .LBB0_350
; %bb.349:
	v_div_scale_f32 v0, null, v115, v115, 0x4681b030
	s_mov_b32 s1, 0x347b012a
	s_delay_alu instid0(SALU_CYCLE_1) | instskip(NEXT) | instid1(VALU_DEP_2)
	v_fmaak_f32 v3, s1, v115, 0xb82007dc
	v_rcp_f32_e32 v1, v0
	s_delay_alu instid0(VALU_DEP_1) | instskip(NEXT) | instid1(VALU_DEP_1)
	v_fmaak_f32 v3, v115, v3, 0x3b664dec
	v_fmaak_f32 v3, v115, v3, 0xbe2a8916
	s_waitcnt_depctr 0xfff
	v_fma_f32 v2, -v0, v1, 1.0
	v_fmaak_f32 v3, v115, v3, 0x40999a1a
	s_delay_alu instid0(VALU_DEP_2) | instskip(SKIP_1) | instid1(VALU_DEP_1)
	v_fmac_f32_e32 v1, v2, v1
	v_div_scale_f32 v2, vcc_lo, 0x4681b030, v115, 0x4681b030
	v_mul_f32_e32 v4, v2, v1
	s_delay_alu instid0(VALU_DEP_1) | instskip(NEXT) | instid1(VALU_DEP_1)
	v_fma_f32 v5, -v0, v4, v2
	v_fmac_f32_e32 v4, v5, v1
	s_delay_alu instid0(VALU_DEP_1) | instskip(SKIP_1) | instid1(VALU_DEP_2)
	v_fma_f32 v0, -v0, v4, v2
	v_fmaak_f32 v2, v115, v3, 0xc2aea219
	v_div_fmas_f32 v0, v0, v1, v4
	s_delay_alu instid0(VALU_DEP_2) | instskip(NEXT) | instid1(VALU_DEP_2)
	v_fmaak_f32 v1, v115, v2, 0x44746bc1
	v_div_fixup_f32 v0, v0, v115, 0x4681b030
	s_delay_alu instid0(VALU_DEP_1) | instskip(NEXT) | instid1(VALU_DEP_1)
	v_fmac_f32_e32 v0, v115, v1
	v_add_f32_e32 v1, 0xc5c00653, v0
.LBB0_350:
	s_and_not1_saveexec_b32 s0, s0
; %bb.351:
	s_mov_b32 s1, 0x36c0af5a
	s_delay_alu instid0(SALU_CYCLE_1) | instskip(NEXT) | instid1(VALU_DEP_1)
	v_fmaak_f32 v0, s1, v115, 0xb89f1e53
	v_fmaak_f32 v0, v115, v0, 0x39767de4
	s_delay_alu instid0(VALU_DEP_1) | instskip(NEXT) | instid1(VALU_DEP_1)
	v_fmaak_f32 v0, v115, v0, 0xbb784221
	v_fmaak_f32 v0, v115, v0, 0x3e9ea77f
	s_delay_alu instid0(VALU_DEP_1) | instskip(NEXT) | instid1(VALU_DEP_1)
	v_fmaak_f32 v0, v115, v0, 0xc0e38e05
	v_fmaak_f32 v1, v115, v0, 0x425e1e79
; %bb.352:
	s_or_b32 exec_lo, exec_lo, s0
	v_div_scale_f32 v0, null, v115, v115, 0x3f490fdb
	v_div_scale_f32 v2, null, v115, v115, 0xca194e71
	v_div_scale_f32 v7, vcc_lo, 0x3f490fdb, v115, 0x3f490fdb
	s_delay_alu instid0(VALU_DEP_3) | instskip(NEXT) | instid1(VALU_DEP_2)
	v_rcp_f32_e32 v3, v0
	v_rcp_f32_e32 v4, v2
	s_mov_b32 s13, 0xbe739c2f
	s_mov_b32 s15, 0x3a3f52db
	;; [unrolled: 1-line block ×4, first 2 shown]
	s_waitcnt_depctr 0xfff
	v_fma_f32 v5, -v0, v3, 1.0
	v_fma_f32 v6, -v2, v4, 1.0
	s_delay_alu instid0(VALU_DEP_1) | instskip(SKIP_1) | instid1(VALU_DEP_2)
	v_dual_fmac_f32 v3, v5, v3 :: v_dual_fmac_f32 v4, v6, v4
	v_div_scale_f32 v5, s0, 0xca194e71, v115, 0xca194e71
	v_mul_f32_e32 v6, v7, v3
	s_delay_alu instid0(VALU_DEP_2) | instskip(NEXT) | instid1(VALU_DEP_2)
	v_mul_f32_e32 v8, v5, v4
	v_fma_f32 v9, -v0, v6, v7
	s_delay_alu instid0(VALU_DEP_2) | instskip(NEXT) | instid1(VALU_DEP_2)
	v_fma_f32 v10, -v2, v8, v5
	v_fmac_f32_e32 v6, v9, v3
	s_delay_alu instid0(VALU_DEP_2) | instskip(NEXT) | instid1(VALU_DEP_2)
	v_fmac_f32_e32 v8, v10, v4
	v_fma_f32 v0, -v0, v6, v7
	s_delay_alu instid0(VALU_DEP_2) | instskip(NEXT) | instid1(VALU_DEP_2)
	v_fma_f32 v2, -v2, v8, v5
	v_div_fmas_f32 v3, v0, v3, v6
	s_mov_b32 vcc_lo, s0
	v_div_scale_f32 v10, s0, 0xce7434c4, v115, 0xce7434c4
	s_delay_alu instid0(VALU_DEP_3) | instskip(SKIP_2) | instid1(VALU_DEP_3)
	v_div_fmas_f32 v0, v2, v4, v8
	v_div_scale_f32 v4, null, v115, v115, 0xce7434c4
	v_div_fixup_f32 v3, v3, v115, 0x3f490fdb
	v_div_fixup_f32 v0, v0, v115, 0xca194e71
	s_delay_alu instid0(VALU_DEP_3) | instskip(NEXT) | instid1(VALU_DEP_2)
	v_rcp_f32_e32 v8, v4
	v_mul_f32_e32 v135, 0x4f800000, v3
	s_delay_alu instid0(VALU_DEP_2) | instskip(NEXT) | instid1(VALU_DEP_1)
	v_add_f32_e32 v0, 0x495520f6, v0
	v_div_scale_f32 v5, null, v115, v115, v0
	s_waitcnt_depctr 0xfff
	v_fma_f32 v13, -v4, v8, 1.0
	v_div_scale_f32 v15, vcc_lo, v0, v115, v0
	v_rcp_f32_e32 v7, v5
	s_delay_alu instid0(VALU_DEP_2) | instskip(NEXT) | instid1(VALU_DEP_1)
	v_fmac_f32_e32 v8, v13, v8
	v_mul_f32_e32 v13, v10, v8
	s_waitcnt_depctr 0xfff
	v_fma_f32 v12, -v5, v7, 1.0
	v_fma_f32 v17, -v4, v13, v10
	v_add_f32_e32 v2, 0xbe14ca72, v115
	s_delay_alu instid0(VALU_DEP_3) | instskip(NEXT) | instid1(VALU_DEP_3)
	v_fmac_f32_e32 v7, v12, v7
	v_fmac_f32_e32 v13, v17, v8
	s_delay_alu instid0(VALU_DEP_3) | instskip(SKIP_1) | instid1(VALU_DEP_4)
	v_div_scale_f32 v6, null, v2, v2, 0x3e14ca72
	v_div_scale_f32 v11, s1, 0x3e14ca72, v2, 0x3e14ca72
	v_mul_f32_e32 v12, v15, v7
	s_delay_alu instid0(VALU_DEP_3) | instskip(SKIP_1) | instid1(VALU_DEP_2)
	v_rcp_f32_e32 v9, v6
	v_fma_f32 v4, -v4, v13, v10
	v_fma_f32 v16, -v5, v12, v15
	s_delay_alu instid0(VALU_DEP_1) | instskip(SKIP_3) | instid1(VALU_DEP_2)
	v_fmac_f32_e32 v12, v16, v7
	s_waitcnt_depctr 0xfff
	v_fma_f32 v14, -v6, v9, 1.0
	v_fma_f32 v5, -v5, v12, v15
	v_fmac_f32_e32 v9, v14, v9
	s_delay_alu instid0(VALU_DEP_1) | instskip(NEXT) | instid1(VALU_DEP_1)
	v_mul_f32_e32 v14, v11, v9
	v_fma_f32 v18, -v6, v14, v11
	s_delay_alu instid0(VALU_DEP_1) | instskip(NEXT) | instid1(VALU_DEP_1)
	v_fmac_f32_e32 v14, v18, v9
	v_fma_f32 v10, -v6, v14, v11
	v_div_fmas_f32 v6, v5, v7, v12
	s_mov_b32 vcc_lo, s1
	s_delay_alu instid0(VALU_DEP_2) | instskip(SKIP_3) | instid1(VALU_DEP_1)
	v_div_fmas_f32 v5, v10, v9, v14
	s_mov_b32 vcc_lo, s0
	v_div_scale_f32 v14, s0, 0xcf2bbe86, v115, 0xcf2bbe86
	v_div_fmas_f32 v4, v4, v8, v13
	v_div_fixup_f32 v4, v4, v115, 0xce7434c4
	s_delay_alu instid0(VALU_DEP_1) | instskip(NEXT) | instid1(VALU_DEP_1)
	v_add_f32_e32 v4, 0x4db07acc, v4
	v_div_scale_f32 v7, null, v115, v115, v4
	v_div_scale_f32 v10, vcc_lo, v4, v115, v4
	s_delay_alu instid0(VALU_DEP_2) | instskip(SKIP_2) | instid1(VALU_DEP_1)
	v_rcp_f32_e32 v8, v7
	s_waitcnt_depctr 0xfff
	v_fma_f32 v9, -v7, v8, 1.0
	v_fmac_f32_e32 v8, v9, v8
	s_delay_alu instid0(VALU_DEP_1) | instskip(NEXT) | instid1(VALU_DEP_1)
	v_mul_f32_e32 v9, v10, v8
	v_fma_f32 v11, -v7, v9, v10
	s_delay_alu instid0(VALU_DEP_1) | instskip(NEXT) | instid1(VALU_DEP_1)
	v_fmac_f32_e32 v9, v11, v8
	v_fma_f32 v7, -v7, v9, v10
	s_delay_alu instid0(VALU_DEP_1) | instskip(SKIP_1) | instid1(VALU_DEP_2)
	v_div_fmas_f32 v7, v7, v8, v9
	v_div_scale_f32 v8, null, v115, v115, 0xcf2bbe86
	v_div_fixup_f32 v4, v7, v115, v4
	s_delay_alu instid0(VALU_DEP_2) | instskip(NEXT) | instid1(VALU_DEP_1)
	v_rcp_f32_e32 v12, v8
	v_add_f32_e32 v7, 0xcc5ff7d7, v4
	s_delay_alu instid0(VALU_DEP_1) | instskip(SKIP_4) | instid1(VALU_DEP_2)
	v_div_scale_f32 v9, null, v115, v115, v7
	s_waitcnt_depctr 0xfff
	v_fma_f32 v17, -v8, v12, 1.0
	v_div_scale_f32 v19, vcc_lo, v7, v115, v7
	v_rcp_f32_e32 v11, v9
	v_fmac_f32_e32 v12, v17, v12
	s_delay_alu instid0(VALU_DEP_1) | instskip(NEXT) | instid1(VALU_DEP_1)
	v_dual_add_f32 v4, 0xbfab678a, v115 :: v_dual_mul_f32 v17, v14, v12
	v_div_scale_f32 v10, null, v4, v4, 0x3fab678a
	s_waitcnt_depctr 0xfff
	v_fma_f32 v16, -v9, v11, 1.0
	v_div_scale_f32 v15, s1, 0x3fab678a, v4, 0x3fab678a
	v_rcp_f32_e32 v13, v10
	v_fma_f32 v21, -v8, v17, v14
	s_delay_alu instid0(VALU_DEP_3) | instskip(NEXT) | instid1(VALU_DEP_1)
	v_fmac_f32_e32 v11, v16, v11
	v_dual_fmac_f32 v17, v21, v12 :: v_dual_mul_f32 v16, v19, v11
	s_waitcnt_depctr 0xfff
	v_fma_f32 v18, -v10, v13, 1.0
	v_fma_f32 v14, -v8, v17, v14
	v_fma_f32 v20, -v9, v16, v19
	s_delay_alu instid0(VALU_DEP_3) | instskip(SKIP_1) | instid1(VALU_DEP_3)
	v_fmac_f32_e32 v13, v18, v13
	v_div_fixup_f32 v6, v6, v115, v0
	v_fmac_f32_e32 v16, v20, v11
	s_delay_alu instid0(VALU_DEP_3) | instskip(NEXT) | instid1(VALU_DEP_2)
	v_mul_f32_e32 v18, v15, v13
	v_fma_f32 v9, -v9, v16, v19
	s_delay_alu instid0(VALU_DEP_2) | instskip(NEXT) | instid1(VALU_DEP_2)
	v_fma_f32 v22, -v10, v18, v15
	v_div_fmas_f32 v9, v9, v11, v16
	s_mov_b32 vcc_lo, s1
	s_delay_alu instid0(VALU_DEP_2) | instskip(NEXT) | instid1(VALU_DEP_2)
	v_fmac_f32_e32 v18, v22, v13
	v_div_fixup_f32 v7, v9, v115, v7
	s_delay_alu instid0(VALU_DEP_2) | instskip(NEXT) | instid1(VALU_DEP_1)
	v_fma_f32 v8, -v10, v18, v15
	v_div_fmas_f32 v8, v8, v13, v18
	s_mov_b32 vcc_lo, s0
	v_div_scale_f32 v18, s0, 0x4c0527dc, v115, 0x4c0527dc
	v_div_fmas_f32 v10, v14, v12, v17
	s_delay_alu instid0(VALU_DEP_1) | instskip(NEXT) | instid1(VALU_DEP_1)
	v_div_fixup_f32 v10, v10, v115, 0xcf2bbe86
	v_add_f32_e32 v10, 0x4e7e374b, v10
	s_delay_alu instid0(VALU_DEP_1) | instskip(SKIP_1) | instid1(VALU_DEP_2)
	v_div_scale_f32 v11, null, v115, v115, v10
	v_div_scale_f32 v14, vcc_lo, v10, v115, v10
	v_rcp_f32_e32 v12, v11
	s_waitcnt_depctr 0xfff
	v_fma_f32 v13, -v11, v12, 1.0
	s_delay_alu instid0(VALU_DEP_1) | instskip(NEXT) | instid1(VALU_DEP_1)
	v_fmac_f32_e32 v12, v13, v12
	v_mul_f32_e32 v13, v14, v12
	s_delay_alu instid0(VALU_DEP_1) | instskip(NEXT) | instid1(VALU_DEP_1)
	v_fma_f32 v15, -v11, v13, v14
	v_fmac_f32_e32 v13, v15, v12
	s_delay_alu instid0(VALU_DEP_1) | instskip(NEXT) | instid1(VALU_DEP_1)
	v_fma_f32 v11, -v11, v13, v14
	v_div_fmas_f32 v11, v11, v12, v13
	v_div_scale_f32 v12, null, v115, v115, 0x4c0527dc
	s_delay_alu instid0(VALU_DEP_1) | instskip(SKIP_2) | instid1(VALU_DEP_1)
	v_rcp_f32_e32 v16, v12
	s_waitcnt_depctr 0xfff
	v_fma_f32 v21, -v12, v16, 1.0
	v_fmac_f32_e32 v16, v21, v16
	s_delay_alu instid0(VALU_DEP_1) | instskip(SKIP_2) | instid1(VALU_DEP_3)
	v_mul_f32_e32 v21, v18, v16
	v_div_fixup_f32 v10, v11, v115, v10
	v_add_f32_e32 v11, 0xc07b535f, v115
	v_fma_f32 v25, -v12, v21, v18
	s_delay_alu instid0(VALU_DEP_3) | instskip(NEXT) | instid1(VALU_DEP_3)
	v_add_f32_e32 v10, 0xcd2479c9, v10
	v_div_scale_f32 v14, null, v11, v11, 0x407b535f
	v_div_scale_f32 v19, s1, 0x407b535f, v11, 0x407b535f
	s_delay_alu instid0(VALU_DEP_3) | instskip(NEXT) | instid1(VALU_DEP_3)
	v_div_scale_f32 v13, null, v115, v115, v10
	v_rcp_f32_e32 v17, v14
	v_div_scale_f32 v23, vcc_lo, v10, v115, v10
	s_delay_alu instid0(VALU_DEP_2) | instskip(SKIP_1) | instid1(VALU_DEP_1)
	v_rcp_f32_e32 v15, v13
	v_fmac_f32_e32 v21, v25, v16
	v_fma_f32 v12, -v12, v21, v18
	s_waitcnt_depctr 0xfff
	v_fma_f32 v22, -v14, v17, 1.0
	v_fma_f32 v20, -v13, v15, 1.0
	s_delay_alu instid0(VALU_DEP_2) | instskip(NEXT) | instid1(VALU_DEP_1)
	v_fmac_f32_e32 v17, v22, v17
	v_dual_fmac_f32 v15, v20, v15 :: v_dual_mul_f32 v22, v19, v17
	s_delay_alu instid0(VALU_DEP_1) | instskip(NEXT) | instid1(VALU_DEP_2)
	v_mul_f32_e32 v20, v23, v15
	v_fma_f32 v116, -v14, v22, v19
	s_delay_alu instid0(VALU_DEP_2) | instskip(NEXT) | instid1(VALU_DEP_2)
	v_fma_f32 v24, -v13, v20, v23
	v_fmac_f32_e32 v22, v116, v17
	s_delay_alu instid0(VALU_DEP_2) | instskip(NEXT) | instid1(VALU_DEP_2)
	v_fmac_f32_e32 v20, v24, v15
	v_fma_f32 v14, -v14, v22, v19
	s_delay_alu instid0(VALU_DEP_2) | instskip(NEXT) | instid1(VALU_DEP_1)
	v_fma_f32 v13, -v13, v20, v23
	v_div_fmas_f32 v13, v13, v15, v20
	s_mov_b32 vcc_lo, s1
	v_add_f32_e32 v15, 0xc1096b0d, v115
	v_div_fmas_f32 v14, v14, v17, v22
	s_mov_b32 vcc_lo, s0
	v_div_scale_f32 v22, s0, 0x4c46ea5e, v115, 0x4c46ea5e
	v_div_fmas_f32 v12, v12, v16, v21
	v_div_scale_f32 v16, null, v115, v115, 0x4c46ea5e
	v_div_scale_f32 v18, null, v15, v15, 0x41096b0d
	s_delay_alu instid0(VALU_DEP_3) | instskip(NEXT) | instid1(VALU_DEP_3)
	v_div_fixup_f32 v12, v12, v115, 0x4c0527dc
	v_rcp_f32_e32 v20, v16
	v_div_scale_f32 v23, s1, 0x41096b0d, v15, 0x41096b0d
	s_delay_alu instid0(VALU_DEP_3) | instskip(NEXT) | instid1(VALU_DEP_2)
	v_rcp_f32_e32 v21, v18
	v_add_f32_e32 v12, 0xcb7baf74, v12
	s_delay_alu instid0(VALU_DEP_1)
	v_div_scale_f32 v17, null, v115, v115, v12
	v_div_scale_f32 v117, vcc_lo, v12, v115, v12
	s_waitcnt_depctr 0xfff
	v_fma_f32 v25, -v16, v20, 1.0
	v_rcp_f32_e32 v19, v17
	v_fma_f32 v116, -v18, v21, 1.0
	s_delay_alu instid0(VALU_DEP_1) | instskip(SKIP_2) | instid1(VALU_DEP_1)
	v_fmac_f32_e32 v21, v116, v21
	s_waitcnt_depctr 0xfff
	v_fma_f32 v24, -v17, v19, 1.0
	v_dual_mul_f32 v116, v23, v21 :: v_dual_fmac_f32 v19, v24, v19
	s_delay_alu instid0(VALU_DEP_1) | instskip(NEXT) | instid1(VALU_DEP_1)
	v_mul_f32_e32 v24, v117, v19
	v_fma_f32 v118, -v17, v24, v117
	s_delay_alu instid0(VALU_DEP_1) | instskip(NEXT) | instid1(VALU_DEP_1)
	v_fmac_f32_e32 v24, v118, v19
	v_fma_f32 v17, -v17, v24, v117
	s_delay_alu instid0(VALU_DEP_1) | instskip(SKIP_3) | instid1(VALU_DEP_1)
	v_div_fmas_f32 v17, v17, v19, v24
	s_mov_b32 vcc_lo, s1
	s_mov_b32 s1, 0xb83af1e6
	v_fmac_f32_e32 v20, v25, v20
	v_mul_f32_e32 v25, v22, v20
	v_div_fixup_f32 v10, v13, v115, v10
	s_delay_alu instid0(VALU_DEP_2) | instskip(NEXT) | instid1(VALU_DEP_1)
	v_fma_f32 v119, -v16, v25, v22
	v_fmac_f32_e32 v25, v119, v20
	v_fmaak_f32 v119, s13, v115, 0x41934c39
	v_fma_f32 v128, -v18, v116, v23
	s_delay_alu instid0(VALU_DEP_3) | instskip(NEXT) | instid1(VALU_DEP_2)
	v_fma_f32 v16, -v16, v25, v22
	v_fmac_f32_e32 v116, v128, v21
	s_delay_alu instid0(VALU_DEP_1) | instskip(NEXT) | instid1(VALU_DEP_1)
	v_fma_f32 v18, -v18, v116, v23
	v_div_fmas_f32 v18, v18, v21, v116
	s_mov_b32 vcc_lo, s0
	v_div_fmas_f32 v16, v16, v20, v25
	s_delay_alu instid0(VALU_DEP_2) | instskip(NEXT) | instid1(VALU_DEP_2)
	v_div_fixup_f32 v18, v18, v15, 0x41096b0d
	v_div_fixup_f32 v16, v16, v115, 0x4c46ea5e
	s_delay_alu instid0(VALU_DEP_1) | instskip(NEXT) | instid1(VALU_DEP_1)
	v_add_f32_e32 v16, 0xcb4ca412, v16
	v_div_scale_f32 v19, null, v115, v115, v16
	v_div_scale_f32 v22, vcc_lo, v16, v115, v16
	s_delay_alu instid0(VALU_DEP_2) | instskip(SKIP_2) | instid1(VALU_DEP_1)
	v_rcp_f32_e32 v20, v19
	s_waitcnt_depctr 0xfff
	v_fma_f32 v21, -v19, v20, 1.0
	v_fmac_f32_e32 v20, v21, v20
	s_delay_alu instid0(VALU_DEP_1) | instskip(NEXT) | instid1(VALU_DEP_1)
	v_mul_f32_e32 v21, v22, v20
	v_fma_f32 v23, -v19, v21, v22
	s_delay_alu instid0(VALU_DEP_1) | instskip(NEXT) | instid1(VALU_DEP_1)
	v_fmac_f32_e32 v21, v23, v20
	v_fma_f32 v19, -v19, v21, v22
	s_delay_alu instid0(VALU_DEP_1) | instskip(SKIP_1) | instid1(VALU_DEP_2)
	v_div_fmas_f32 v19, v19, v20, v21
	v_div_scale_f32 v20, null, v115, v115, 0x4b6c15fd
	v_div_fixup_f32 v16, v19, v115, v16
	s_delay_alu instid0(VALU_DEP_2) | instskip(NEXT) | instid1(VALU_DEP_1)
	v_rcp_f32_e32 v22, v20
	v_add_f32_e32 v16, 0x498ac2e8, v16
	s_delay_alu instid0(VALU_DEP_1) | instskip(SKIP_4) | instid1(VALU_DEP_2)
	v_div_scale_f32 v19, null, v115, v115, v16
	s_waitcnt_depctr 0xfff
	v_fma_f32 v24, -v20, v22, 1.0
	v_div_scale_f32 v25, vcc_lo, v16, v115, v16
	v_rcp_f32_e32 v21, v19
	v_fmac_f32_e32 v22, v24, v22
	s_waitcnt_depctr 0xfff
	v_fma_f32 v23, -v19, v21, 1.0
	s_delay_alu instid0(VALU_DEP_1) | instskip(SKIP_1) | instid1(VALU_DEP_2)
	v_fmac_f32_e32 v21, v23, v21
	v_div_scale_f32 v23, s0, 0x4b6c15fd, v115, 0x4b6c15fd
	v_mul_f32_e32 v24, v25, v21
	s_delay_alu instid0(VALU_DEP_2) | instskip(NEXT) | instid1(VALU_DEP_2)
	v_mul_f32_e32 v116, v23, v22
	v_fma_f32 v117, -v19, v24, v25
	s_delay_alu instid0(VALU_DEP_2) | instskip(NEXT) | instid1(VALU_DEP_2)
	v_fma_f32 v118, -v20, v116, v23
	v_dual_fmac_f32 v24, v117, v21 :: v_dual_fmaak_f32 v117, s1, v115, 0x3aa6cffa
	v_cmp_gt_f32_e64 s1, 0xf800000, v3
	s_delay_alu instid0(VALU_DEP_2) | instskip(NEXT) | instid1(VALU_DEP_3)
	v_fma_f32 v19, -v19, v24, v25
	v_fmaak_f32 v117, v115, v117, 0xbe72a452
	s_delay_alu instid0(VALU_DEP_3) | instskip(NEXT) | instid1(VALU_DEP_3)
	v_cndmask_b32_e64 v3, v3, v135, s1
	v_div_fmas_f32 v19, v19, v21, v24
	v_mul_f32_e32 v21, 0xbfb8aa3b, v115
	s_delay_alu instid0(VALU_DEP_3) | instskip(SKIP_2) | instid1(VALU_DEP_1)
	v_sqrt_f32_e32 v135, v3
	v_fmac_f32_e32 v116, v118, v22
	s_mov_b32 vcc_lo, s0
	v_fma_f32 v20, -v20, v116, v23
	v_div_scale_f32 v23, null, v115, v115, 0x3e48f136
	s_delay_alu instid0(VALU_DEP_1) | instskip(SKIP_2) | instid1(VALU_DEP_1)
	v_rcp_f32_e32 v25, v23
	s_waitcnt_depctr 0xfff
	v_fma_f32 v131, -v23, v25, 1.0
	v_fmac_f32_e32 v25, v131, v25
	v_fma_f32 v131, 0xbfb8aa3b, v115, -v21
	s_delay_alu instid0(VALU_DEP_1) | instskip(SKIP_2) | instid1(VALU_DEP_2)
	v_fmamk_f32 v131, v115, 0xb2a5705f, v131
	v_div_fmas_f32 v20, v20, v22, v116
	v_div_scale_f32 v116, s0, 0x3e48f136, v115, 0x3e48f136
	v_div_fixup_f32 v20, v20, v115, 0x4b6c15fd
	s_delay_alu instid0(VALU_DEP_2) | instskip(NEXT) | instid1(VALU_DEP_2)
	v_mul_f32_e32 v134, v116, v25
	v_add_f32_e32 v20, 0xcaa08b90, v20
	s_delay_alu instid0(VALU_DEP_2) | instskip(NEXT) | instid1(VALU_DEP_2)
	v_fma_f32 v145, -v23, v134, v116
	v_div_scale_f32 v22, null, v115, v115, v20
	v_div_scale_f32 v132, vcc_lo, v20, v115, v20
	s_delay_alu instid0(VALU_DEP_3) | instskip(NEXT) | instid1(VALU_DEP_3)
	v_fmac_f32_e32 v134, v145, v25
	v_rcp_f32_e32 v24, v22
	s_delay_alu instid0(VALU_DEP_1) | instskip(SKIP_3) | instid1(VALU_DEP_1)
	v_fma_f32 v23, -v23, v134, v116
	v_dual_fmaak_f32 v116, v115, v117, 0x4176edd6 :: v_dual_add_nc_u32 v117, 1, v135
	s_waitcnt_depctr 0xfff
	v_fma_f32 v129, -v22, v24, 1.0
	v_fmac_f32_e32 v24, v129, v24
	v_rndne_f32_e32 v129, v21
	s_delay_alu instid0(VALU_DEP_2) | instskip(NEXT) | instid1(VALU_DEP_2)
	v_mul_f32_e32 v133, v132, v24
	v_sub_f32_e32 v21, v21, v129
	v_div_fixup_f32 v12, v17, v115, v12
	s_delay_alu instid0(VALU_DEP_3) | instskip(NEXT) | instid1(VALU_DEP_3)
	v_fma_f32 v144, -v22, v133, v132
	v_add_f32_e32 v21, v21, v131
	v_fma_f32 v131, -v117, v135, v3
	s_delay_alu instid0(VALU_DEP_3) | instskip(NEXT) | instid1(VALU_DEP_3)
	v_fmac_f32_e32 v133, v144, v24
	v_exp_f32_e32 v21, v21
	s_delay_alu instid0(VALU_DEP_1) | instskip(NEXT) | instid1(VALU_DEP_1)
	v_fma_f32 v22, -v22, v133, v132
	v_div_fmas_f32 v22, v22, v24, v133
	s_mov_b32 vcc_lo, s0
	v_cvt_i32_f32_e32 v24, v129
	v_div_fmas_f32 v23, v23, v25, v134
	v_add_nc_u32_e32 v25, -1, v135
	s_mov_b32 s0, 0xba1d77bb
	v_div_fixup_f32 v16, v19, v115, v16
	s_delay_alu instid0(TRANS32_DEP_1) | instskip(SKIP_2) | instid1(VALU_DEP_2)
	v_ldexp_f32 v21, v21, v24
	v_div_fixup_f32 v23, v23, v115, 0x3e48f136
	v_fma_f32 v129, -v25, v135, v3
	v_add_f32_e32 v23, 0xbefe708c, v23
	s_delay_alu instid0(VALU_DEP_2) | instskip(NEXT) | instid1(VALU_DEP_2)
	v_cmp_ge_f32_e32 vcc_lo, 0, v129
	v_div_scale_f32 v129, null, v115, v115, v23
	v_cndmask_b32_e32 v25, v135, v25, vcc_lo
	v_cmp_lt_f32_e32 vcc_lo, 0, v131
	s_delay_alu instid0(VALU_DEP_2) | instskip(SKIP_1) | instid1(VALU_DEP_2)
	v_cndmask_b32_e32 v24, v25, v117, vcc_lo
	v_cmp_nlt_f32_e32 vcc_lo, 0x42ce8ed0, v115
	v_mul_f32_e32 v117, 0x37800000, v24
	v_cndmask_b32_e32 v21, 0, v21, vcc_lo
	v_cmp_ngt_f32_e32 vcc_lo, 0xc2b17218, v115
	v_div_fixup_f32 v19, v22, v115, v20
	s_delay_alu instid0(VALU_DEP_4) | instskip(NEXT) | instid1(VALU_DEP_4)
	v_cndmask_b32_e64 v0, v24, v117, s1
	v_cndmask_b32_e32 v131, 0x7f800000, v21, vcc_lo
	v_cmp_class_f32_e64 vcc_lo, v3, 0x260
	s_delay_alu instid0(VALU_DEP_2) | instskip(NEXT) | instid1(VALU_DEP_4)
	v_dual_fmaak_f32 v130, s15, v115, 0xbd10f50f :: v_dual_mul_f32 v1, v131, v1
	v_dual_cndmask_b32 v3, v0, v3 :: v_dual_fmaak_f32 v116, v115, v116, 0xc402b325
	v_div_fixup_f32 v0, v5, v2, 0x3e14ca72
	v_div_scale_f32 v5, vcc_lo, v23, v115, v23
	s_delay_alu instid0(VALU_DEP_3) | instskip(SKIP_1) | instid1(VALU_DEP_1)
	v_fmaak_f32 v25, v115, v116, 0x46258c7d
	v_rcp_f32_e32 v116, v129
	v_dual_fmac_f32 v6, v115, v25 :: v_dual_fmaak_f32 v25, s0, v115, 0xbeba9d10
	s_delay_alu instid0(VALU_DEP_1) | instskip(SKIP_4) | instid1(VALU_DEP_1)
	v_add_f32_e32 v2, 0xc7fc5531, v6
	v_fmaak_f32 v6, v115, v130, 0x4004fd88
	s_waitcnt_depctr 0xfff
	v_fma_f32 v9, -v129, v116, 1.0
	v_fmaak_f32 v6, v115, v6, 0xc2c8edee
	v_fmaak_f32 v6, v115, v6, 0x454500fa
	s_delay_alu instid0(VALU_DEP_1) | instskip(NEXT) | instid1(VALU_DEP_1)
	v_fmaak_f32 v6, v115, v6, 0xc774f179
	v_dual_fmaak_f32 v118, s3, v115, 0x40cb68be :: v_dual_fmac_f32 v19, v115, v6
	s_delay_alu instid0(VALU_DEP_1) | instskip(NEXT) | instid1(VALU_DEP_1)
	v_fmaak_f32 v118, v115, v118, 0xc3a92602
	v_fmaak_f32 v118, v115, v118, 0x46438033
	s_delay_alu instid0(VALU_DEP_1) | instskip(NEXT) | instid1(VALU_DEP_1)
	v_fmaak_f32 v118, v115, v118, 0xc89ab5f2
	v_dual_fmaak_f32 v128, s14, v115, 0xbc1634c4 :: v_dual_fmac_f32 v7, v115, v118
	s_delay_alu instid0(VALU_DEP_1) | instskip(NEXT) | instid1(VALU_DEP_1)
	v_fmaak_f32 v128, v115, v128, 0x3eeca3b6
	v_fmaak_f32 v21, v115, v128, 0xc19d8e16
	v_dual_fmac_f32 v116, v9, v116 :: v_dual_fmaak_f32 v9, v115, v119, 0xc47a8078
	s_delay_alu instid0(VALU_DEP_1) | instskip(NEXT) | instid1(VALU_DEP_2)
	v_dual_fmaak_f32 v21, v115, v21, 0x43f995a8 :: v_dual_mul_f32 v24, v5, v116
	v_fmaak_f32 v9, v115, v9, 0x47128b2f
	s_delay_alu instid0(VALU_DEP_2) | instskip(NEXT) | instid1(VALU_DEP_3)
	v_fmaak_f32 v21, v115, v21, 0xc5c23196
	v_fma_f32 v117, -v129, v24, v5
	v_fmaak_f32 v25, v115, v25, 0x417bfe6a
	s_delay_alu instid0(VALU_DEP_4) | instskip(NEXT) | instid1(VALU_DEP_4)
	v_fmaak_f32 v9, v115, v9, 0xc968162b
	v_fmac_f32_e32 v16, v115, v21
	s_delay_alu instid0(VALU_DEP_4) | instskip(NEXT) | instid1(VALU_DEP_4)
	v_fmac_f32_e32 v24, v117, v116
	v_fmaak_f32 v20, v115, v25, 0xc423bc6f
	s_delay_alu instid0(VALU_DEP_4) | instskip(NEXT) | instid1(VALU_DEP_3)
	v_fmac_f32_e32 v10, v115, v9
	v_fma_f32 v5, -v129, v24, v5
	s_delay_alu instid0(VALU_DEP_3) | instskip(NEXT) | instid1(VALU_DEP_2)
	v_fmaak_f32 v6, v115, v20, 0x46857602
	v_div_fmas_f32 v5, v5, v116, v24
	s_delay_alu instid0(VALU_DEP_2)
	v_fmaak_f32 v6, v115, v6, 0xc88ddabe
	v_fmamk_f32 v116, v3, 0x396c2b78, v1
	v_add_f32_e32 v1, 0x4aa45f3c, v7
	v_add_f32_e32 v13, 0xc52ff030, v16
	v_div_fixup_f32 v5, v5, v115, v23
	v_fmac_f32_e32 v12, v115, v6
	v_div_fixup_f32 v7, v8, v4, 0x3fab678a
	s_delay_alu instid0(VALU_DEP_4) | instskip(NEXT) | instid1(VALU_DEP_4)
	v_dual_add_f32 v4, 0x4b74c7d3, v10 :: v_dual_mul_f32 v13, v131, v13
	v_add_f32_e32 v5, 0xb87c50a3, v5
	v_add_f32_e32 v16, 0x493b49f6, v19
	v_fmac_f32_e32 v0, v131, v2
	v_fmac_f32_e32 v7, v131, v1
	v_fmamk_f32 v21, v3, 0x3c9ddd0b, v13
	v_div_fixup_f32 v13, v14, v11, 0x407b535f
	v_mul_f32_e32 v16, v131, v16
                                        ; implicit-def: $vgpr115
	s_delay_alu instid0(VALU_DEP_2) | instskip(NEXT) | instid1(VALU_DEP_2)
	v_fmac_f32_e32 v13, v131, v4
	v_fmamk_f32 v20, v3, 0x3e701b7a, v16
	v_fmac_f32_e32 v3, v131, v5
	v_add_f32_e32 v5, 0x4a3529ce, v12
	s_delay_alu instid0(VALU_DEP_2) | instskip(NEXT) | instid1(VALU_DEP_2)
	v_sub_f32_e32 v3, v3, v20
	v_fmac_f32_e32 v18, v131, v5
	s_delay_alu instid0(VALU_DEP_2) | instskip(NEXT) | instid1(VALU_DEP_1)
	v_sub_f32_e32 v3, v3, v21
	v_sub_f32_e32 v19, v3, v116
.LBB0_353:
	s_and_not1_saveexec_b32 s13, s2
	s_cbranch_execz .LBB0_359
; %bb.354:
	v_div_scale_f32 v0, null, v115, v115, 0x3f490fdb
	v_div_scale_f32 v3, vcc_lo, 0x3f490fdb, v115, 0x3f490fdb
	v_add_f32_e32 v23, 0xbfab678a, v115
	s_delay_alu instid0(VALU_DEP_3)
	v_rcp_f32_e32 v1, v0
                                        ; implicit-def: $vgpr116
                                        ; implicit-def: $vgpr21
                                        ; implicit-def: $vgpr18
	s_mov_b32 s1, exec_lo
	v_add_f32_e32 v24, 0xbe14ca72, v115
	v_add_f32_e32 v25, 0xc1096b0d, v115
	;; [unrolled: 1-line block ×3, first 2 shown]
	s_waitcnt_depctr 0xfff
	v_fma_f32 v2, -v0, v1, 1.0
	s_delay_alu instid0(VALU_DEP_1) | instskip(NEXT) | instid1(VALU_DEP_1)
	v_fmac_f32_e32 v1, v2, v1
	v_mul_f32_e32 v2, v3, v1
	s_delay_alu instid0(VALU_DEP_1) | instskip(NEXT) | instid1(VALU_DEP_1)
	v_fma_f32 v4, -v0, v2, v3
	v_fmac_f32_e32 v2, v4, v1
	s_delay_alu instid0(VALU_DEP_1) | instskip(NEXT) | instid1(VALU_DEP_1)
	v_fma_f32 v0, -v0, v2, v3
	v_div_fmas_f32 v0, v0, v1, v2
	s_delay_alu instid0(VALU_DEP_1) | instskip(NEXT) | instid1(VALU_DEP_1)
	v_div_fixup_f32 v0, v0, v115, 0x3f490fdb
	v_mul_f32_e32 v1, 0x4f800000, v0
	v_cmp_gt_f32_e32 vcc_lo, 0xf800000, v0
	s_delay_alu instid0(VALU_DEP_2) | instskip(NEXT) | instid1(VALU_DEP_1)
	v_cndmask_b32_e32 v0, v0, v1, vcc_lo
	v_sqrt_f32_e32 v1, v0
	s_waitcnt_depctr 0xfff
	v_add_nc_u32_e32 v2, -1, v1
	v_add_nc_u32_e32 v3, 1, v1
	s_delay_alu instid0(VALU_DEP_2) | instskip(NEXT) | instid1(VALU_DEP_2)
	v_fma_f32 v4, -v2, v1, v0
	v_fma_f32 v5, -v3, v1, v0
	s_delay_alu instid0(VALU_DEP_2) | instskip(NEXT) | instid1(VALU_DEP_1)
	v_cmp_ge_f32_e64 s0, 0, v4
	v_cndmask_b32_e64 v1, v1, v2, s0
	s_delay_alu instid0(VALU_DEP_3) | instskip(NEXT) | instid1(VALU_DEP_1)
	v_cmp_lt_f32_e64 s0, 0, v5
	v_cndmask_b32_e64 v1, v1, v3, s0
	s_delay_alu instid0(VALU_DEP_1) | instskip(NEXT) | instid1(VALU_DEP_1)
	v_mul_f32_e32 v2, 0x37800000, v1
	v_cndmask_b32_e32 v1, v1, v2, vcc_lo
	v_cmp_class_f32_e64 vcc_lo, v0, 0x260
	s_delay_alu instid0(VALU_DEP_2)
	v_cndmask_b32_e32 v22, v1, v0, vcc_lo
	v_cmpx_ge_f32_e32 0x42540000, v115
	s_xor_b32 s14, exec_lo, s1
                                        ; implicit-def: $vgpr0_vgpr1_vgpr2_vgpr3_vgpr4_vgpr5_vgpr6
                                        ; implicit-def: $vgpr6_vgpr7_vgpr8_vgpr9_vgpr10_vgpr11_vgpr12
                                        ; implicit-def: $vgpr11_vgpr12_vgpr13_vgpr14_vgpr15_vgpr16_vgpr17
	s_cbranch_execz .LBB0_356
; %bb.355:
	v_frexp_mant_f32_e32 v0, v115
	s_mov_b32 s0, 0x3e76c4e1
	s_mov_b32 s3, 0xbb0f9cc4
	;; [unrolled: 1-line block ×3, first 2 shown]
	v_div_scale_f32 v11, s1, 0x3fab678a, v23, 0x3fab678a
	v_cmp_gt_f32_e32 vcc_lo, 0x3f2aaaab, v0
	s_mov_b32 s16, 0xb9be174b
	s_mov_b32 s15, 0xba7d3098
	;; [unrolled: 1-line block ×4, first 2 shown]
	v_cndmask_b32_e64 v1, 1.0, 2.0, vcc_lo
	v_fmaak_f32 v18, s19, v115, 0xbb77644e
	s_mov_b32 s20, 0x3a219432
	v_div_scale_f32 v12, s2, 0x3e14ca72, v24, 0x3e14ca72
	s_delay_alu instid0(VALU_DEP_3) | instskip(NEXT) | instid1(VALU_DEP_3)
	v_mul_f32_e32 v0, v0, v1
	v_fmaak_f32 v132, v115, v18, 0x3cabea3c
	v_fmaak_f32 v15, s17, v115, 0xba3493bb
	s_delay_alu instid0(VALU_DEP_3) | instskip(SKIP_1) | instid1(VALU_DEP_1)
	v_add_f32_e32 v3, -1.0, v0
	v_add_f32_e32 v1, 1.0, v0
	v_rcp_f32_e32 v2, v1
	s_waitcnt_depctr 0xfff
	v_dual_mul_f32 v4, v3, v2 :: v_dual_add_f32 v5, -1.0, v1
	s_delay_alu instid0(VALU_DEP_1) | instskip(NEXT) | instid1(VALU_DEP_2)
	v_mul_f32_e32 v6, v1, v4
	v_sub_f32_e32 v0, v0, v5
	s_delay_alu instid0(VALU_DEP_2) | instskip(NEXT) | instid1(VALU_DEP_1)
	v_fma_f32 v1, v4, v1, -v6
	v_fmac_f32_e32 v1, v4, v0
	s_delay_alu instid0(VALU_DEP_1) | instskip(NEXT) | instid1(VALU_DEP_1)
	v_add_f32_e32 v0, v6, v1
	v_dual_sub_f32 v5, v3, v0 :: v_dual_sub_f32 v6, v0, v6
	s_delay_alu instid0(VALU_DEP_1) | instskip(NEXT) | instid1(VALU_DEP_2)
	v_sub_f32_e32 v1, v6, v1
	v_sub_f32_e32 v3, v3, v5
	s_delay_alu instid0(VALU_DEP_1) | instskip(NEXT) | instid1(VALU_DEP_1)
	v_sub_f32_e32 v0, v3, v0
	v_add_f32_e32 v0, v1, v0
	s_delay_alu instid0(VALU_DEP_1) | instskip(NEXT) | instid1(VALU_DEP_1)
	v_add_f32_e32 v0, v5, v0
	v_mul_f32_e32 v0, v2, v0
	s_delay_alu instid0(VALU_DEP_1) | instskip(NEXT) | instid1(VALU_DEP_1)
	v_add_f32_e32 v2, v4, v0
	v_sub_f32_e32 v1, v2, v4
	v_mul_f32_e32 v3, v2, v2
	s_delay_alu instid0(VALU_DEP_1) | instskip(NEXT) | instid1(VALU_DEP_3)
	v_fma_f32 v5, v2, v2, -v3
	v_sub_f32_e32 v4, v0, v1
	s_delay_alu instid0(VALU_DEP_1) | instskip(NEXT) | instid1(VALU_DEP_1)
	v_add_f32_e32 v0, v4, v4
	v_fmac_f32_e32 v5, v2, v0
	v_cvt_f64_f32_e32 v[0:1], v115
	s_delay_alu instid0(VALU_DEP_2) | instskip(NEXT) | instid1(VALU_DEP_1)
	v_add_f32_e32 v6, v3, v5
	v_sub_f32_e32 v3, v6, v3
	v_fmaak_f32 v7, s0, v6, 0x3e91f4c4
	s_delay_alu instid0(VALU_DEP_2) | instskip(NEXT) | instid1(VALU_DEP_2)
	v_sub_f32_e32 v3, v5, v3
	v_fmaak_f32 v7, v6, v7, 0x3ecccdef
	v_mul_f32_e32 v10, v2, v6
	s_delay_alu instid0(VALU_DEP_2) | instskip(NEXT) | instid1(VALU_DEP_1)
	v_mul_f32_e32 v8, v6, v7
	v_fma_f32 v5, v6, v7, -v8
	s_delay_alu instid0(VALU_DEP_1) | instskip(NEXT) | instid1(VALU_DEP_1)
	v_fmac_f32_e32 v5, v3, v7
	v_add_f32_e32 v7, v8, v5
	v_frexp_exp_i32_f64_e32 v0, v[0:1]
	s_delay_alu instid0(VALU_DEP_2) | instskip(NEXT) | instid1(VALU_DEP_1)
	v_sub_f32_e32 v8, v7, v8
	v_sub_f32_e32 v1, v5, v8
	v_fma_f32 v8, v6, v2, -v10
	s_delay_alu instid0(VALU_DEP_1) | instskip(SKIP_1) | instid1(VALU_DEP_2)
	v_dual_fmac_f32 v8, v6, v4 :: v_dual_add_f32 v9, 0x3f2aaaaa, v7
	v_ldexp_f32 v4, v4, 1
	v_dual_fmac_f32 v8, v3, v2 :: v_dual_add_f32 v5, 0xbf2aaaaa, v9
	v_add_f32_e32 v1, 0x31739010, v1
	s_delay_alu instid0(VALU_DEP_2) | instskip(NEXT) | instid1(VALU_DEP_1)
	v_sub_f32_e32 v5, v7, v5
	v_add_f32_e32 v1, v1, v5
	s_delay_alu instid0(VALU_DEP_4) | instskip(SKIP_2) | instid1(VALU_DEP_2)
	v_add_f32_e32 v5, v10, v8
	v_subrev_co_ci_u32_e32 v0, vcc_lo, 0, v0, vcc_lo
	v_cmp_eq_f32_e32 vcc_lo, 1.0, v115
	v_cvt_f32_i32_e32 v0, v0
	v_add_f32_e32 v3, v9, v1
	s_delay_alu instid0(VALU_DEP_1) | instskip(SKIP_1) | instid1(VALU_DEP_1)
	v_sub_f32_e32 v6, v9, v3
	v_sub_f32_e32 v9, v5, v10
	v_dual_add_f32 v1, v1, v6 :: v_dual_sub_f32 v8, v8, v9
	v_mul_f32_e32 v7, v5, v3
	v_div_scale_f32 v9, null, v23, v23, 0x3fab678a
	s_delay_alu instid0(VALU_DEP_2) | instskip(NEXT) | instid1(VALU_DEP_2)
	v_fma_f32 v6, v5, v3, -v7
	v_rcp_f32_e32 v128, v9
	s_delay_alu instid0(VALU_DEP_1) | instskip(SKIP_1) | instid1(VALU_DEP_2)
	v_fmac_f32_e32 v6, v5, v1
	v_ldexp_f32 v1, v2, 1
	v_fmac_f32_e32 v6, v8, v3
	s_waitcnt_depctr 0xfff
	v_fma_f32 v135, -v9, v128, 1.0
	v_add_f32_e32 v2, v7, v6
	s_delay_alu instid0(VALU_DEP_2) | instskip(NEXT) | instid1(VALU_DEP_2)
	v_fmac_f32_e32 v128, v135, v128
	v_dual_fmaak_f32 v14, s16, v115, 0xbc14f7f1 :: v_dual_add_f32 v3, v1, v2
	v_sub_f32_e32 v5, v2, v7
	s_delay_alu instid0(VALU_DEP_2) | instskip(NEXT) | instid1(VALU_DEP_2)
	v_sub_f32_e32 v1, v3, v1
	v_sub_f32_e32 v5, v6, v5
	s_delay_alu instid0(VALU_DEP_2) | instskip(NEXT) | instid1(VALU_DEP_2)
	v_sub_f32_e32 v1, v2, v1
	v_add_f32_e32 v2, v4, v5
	s_delay_alu instid0(VALU_DEP_1) | instskip(NEXT) | instid1(VALU_DEP_1)
	v_add_f32_e32 v1, v2, v1
	v_dual_mul_f32 v7, 0x3f317218, v0 :: v_dual_add_f32 v4, v3, v1
	s_delay_alu instid0(VALU_DEP_1) | instskip(NEXT) | instid1(VALU_DEP_1)
	v_fma_f32 v6, 0x3f317218, v0, -v7
	v_fmamk_f32 v0, v0, 0xb102e308, v6
	s_delay_alu instid0(VALU_DEP_1) | instskip(NEXT) | instid1(VALU_DEP_1)
	v_add_f32_e32 v2, v7, v0
	v_sub_f32_e32 v7, v2, v7
	s_delay_alu instid0(VALU_DEP_1) | instskip(NEXT) | instid1(VALU_DEP_1)
	v_dual_sub_f32 v0, v0, v7 :: v_dual_add_f32 v5, v2, v4
	v_sub_f32_e32 v6, v5, v2
	s_delay_alu instid0(VALU_DEP_1) | instskip(NEXT) | instid1(VALU_DEP_1)
	v_sub_f32_e32 v8, v5, v6
	v_dual_sub_f32 v2, v2, v8 :: v_dual_sub_f32 v3, v4, v3
	v_div_scale_f32 v8, s0, 0x407b535f, v117, 0x407b535f
	s_delay_alu instid0(VALU_DEP_2) | instskip(SKIP_1) | instid1(VALU_DEP_2)
	v_sub_f32_e32 v1, v1, v3
	v_sub_f32_e32 v3, v4, v6
	v_add_f32_e32 v4, v0, v1
	s_delay_alu instid0(VALU_DEP_2) | instskip(NEXT) | instid1(VALU_DEP_1)
	v_add_f32_e32 v2, v3, v2
	v_add_f32_e32 v2, v4, v2
	s_delay_alu instid0(VALU_DEP_1) | instskip(NEXT) | instid1(VALU_DEP_1)
	v_dual_add_f32 v6, v5, v2 :: v_dual_sub_f32 v3, v4, v0
	v_sub_f32_e32 v4, v4, v3
	s_delay_alu instid0(VALU_DEP_1) | instskip(NEXT) | instid1(VALU_DEP_3)
	v_dual_sub_f32 v0, v0, v4 :: v_dual_sub_f32 v1, v1, v3
	v_sub_f32_e32 v3, v6, v5
	v_div_scale_f32 v5, null, v117, v117, 0x407b535f
	v_mul_f32_e32 v4, 0xbfb8aa3b, v115
	s_delay_alu instid0(VALU_DEP_3) | instskip(SKIP_1) | instid1(VALU_DEP_4)
	v_dual_add_f32 v0, v1, v0 :: v_dual_sub_f32 v1, v2, v3
	v_cndmask_b32_e64 v2, 4.0, 1.0, vcc_lo
	v_rcp_f32_e32 v119, v5
	s_delay_alu instid0(VALU_DEP_3) | instskip(SKIP_3) | instid1(VALU_DEP_3)
	v_fma_f32 v21, 0xbfb8aa3b, v115, -v4
	v_rndne_f32_e32 v20, v4
	v_dual_add_f32 v0, v0, v1 :: v_dual_fmaak_f32 v19, s20, v115, 0xbc4f9ac2
	v_div_scale_f32 v3, null, v25, v25, 0x41096b0d
	v_sub_f32_e32 v4, v4, v20
	s_delay_alu instid0(VALU_DEP_3) | instskip(NEXT) | instid1(TRANS32_DEP_1)
	v_dual_add_f32 v7, v6, v0 :: v_dual_fmamk_f32 v18, v115, 0xb2a5705f, v21
	v_fma_f32 v134, -v5, v119, 1.0
	v_fmaak_f32 v19, v115, v19, 0x3da6cf84
	v_cvt_i32_f32_e32 v20, v20
	s_delay_alu instid0(VALU_DEP_4)
	v_sub_f32_e32 v6, v7, v6
	v_add_f32_e32 v4, v4, v18
	v_mul_f32_e32 v10, v2, v7
	v_rcp_f32_e32 v118, v3
	v_div_scale_f32 v1, vcc_lo, 0x41096b0d, v25, 0x41096b0d
	v_sub_f32_e32 v0, v0, v6
	s_delay_alu instid0(VALU_DEP_3) | instskip(SKIP_3) | instid1(VALU_DEP_3)
	v_fma_f32 v6, v2, v7, -v10
	v_div_scale_f32 v7, null, v24, v24, 0x3e14ca72
	v_fmac_f32_e32 v119, v134, v119
	v_exp_f32_e32 v4, v4
	v_fmac_f32_e32 v6, v2, v0
	v_fmaak_f32 v0, s3, v115, 0xbdf3ef08
	v_rcp_f32_e32 v129, v7
	v_fma_f32 v18, -v3, v118, 1.0
	s_delay_alu instid0(VALU_DEP_2) | instskip(SKIP_2) | instid1(TRANS32_DEP_2)
	v_fmaak_f32 v131, v115, v0, 0xbf400fa6
	v_add_f32_e32 v13, v10, v6
	v_cmp_class_f32_e64 s3, v10, 0x204
	v_ldexp_f32 v4, v4, v20
	v_fmac_f32_e32 v118, v18, v118
	s_delay_alu instid0(TRANS32_DEP_1) | instskip(NEXT) | instid1(VALU_DEP_4)
	v_fma_f32 v144, -v7, v129, 1.0
	v_cndmask_b32_e64 v17, v13, v10, s3
	v_dual_sub_f32 v10, v13, v10 :: v_dual_mul_f32 v13, v11, v128
	s_delay_alu instid0(VALU_DEP_3) | instskip(NEXT) | instid1(VALU_DEP_3)
	v_dual_fmaak_f32 v2, s15, v115, 0xbd383f42 :: v_dual_fmac_f32 v129, v144, v129
	v_cmp_eq_f32_e64 s3, 0x42b17218, v17
	s_delay_alu instid0(VALU_DEP_3) | instskip(SKIP_1) | instid1(VALU_DEP_4)
	v_sub_f32_e32 v6, v6, v10
	v_fmaak_f32 v14, v115, v14, 0x3e3cc2c7
	v_fmaak_f32 v2, v115, v2, 0x3f1bd945
	v_mul_f32_e32 v134, v12, v129
	v_cndmask_b32_e64 v116, 0, 0x37000000, s3
	v_cmp_neq_f32_e64 s3, 0x7f800000, |v17|
	s_delay_alu instid0(VALU_DEP_2) | instskip(SKIP_2) | instid1(VALU_DEP_4)
	v_sub_f32_e32 v130, v17, v116
	v_fma_f32 v17, -v9, v13, v11
	v_fmaak_f32 v16, s18, v115, 0xb8a5812b
	v_cndmask_b32_e64 v6, 0, v6, s3
	s_delay_alu instid0(VALU_DEP_4) | instskip(NEXT) | instid1(VALU_DEP_4)
	v_cmp_ngt_f32_e64 s3, 0xc2ce8ed0, v130
	v_fmac_f32_e32 v13, v17, v128
	s_delay_alu instid0(VALU_DEP_4) | instskip(SKIP_2) | instid1(VALU_DEP_2)
	v_fmaak_f32 v0, v115, v16, 0x39ac1f68
	v_mul_f32_e32 v16, 0x3fb8aa3b, v130
	v_add_f32_e32 v6, v116, v6
	v_fma_f32 v21, 0x3fb8aa3b, v130, -v16
	v_rndne_f32_e32 v133, v16
	s_delay_alu instid0(VALU_DEP_1) | instskip(SKIP_1) | instid1(VALU_DEP_2)
	v_dual_fmamk_f32 v21, v130, 0x32a5705f, v21 :: v_dual_sub_f32 v16, v16, v133
	v_cvt_i32_f32_e32 v133, v133
	v_add_f32_e32 v16, v16, v21
	v_mul_f32_e32 v21, v8, v119
	s_delay_alu instid0(VALU_DEP_2) | instskip(NEXT) | instid1(VALU_DEP_1)
	v_exp_f32_e32 v16, v16
	v_fma_f32 v20, -v5, v21, v8
	s_delay_alu instid0(VALU_DEP_1) | instskip(SKIP_3) | instid1(VALU_DEP_2)
	v_fmac_f32_e32 v21, v20, v119
	s_waitcnt_depctr 0xfff
	v_ldexp_f32 v16, v16, v133
	v_fma_f32 v133, -v7, v134, v12
	v_cndmask_b32_e64 v16, 0, v16, s3
	v_cmp_nlt_f32_e64 s3, 0x42b17218, v130
	s_delay_alu instid0(VALU_DEP_3) | instskip(NEXT) | instid1(VALU_DEP_2)
	v_fmac_f32_e32 v134, v133, v129
	v_cndmask_b32_e64 v16, 0x7f800000, v16, s3
	v_cmp_nlt_f32_e64 s3, 0x42ce8ed0, v115
	s_delay_alu instid0(VALU_DEP_3) | instskip(NEXT) | instid1(VALU_DEP_3)
	v_fma_f32 v7, -v7, v134, v12
	v_fma_f32 v6, v16, v6, v16
	s_delay_alu instid0(VALU_DEP_3) | instskip(SKIP_1) | instid1(VALU_DEP_1)
	v_cndmask_b32_e64 v4, 0, v4, s3
	v_cmp_ngt_f32_e64 s3, 0xc2b17218, v115
	v_cndmask_b32_e64 v4, 0x7f800000, v4, s3
	v_cmp_class_f32_e64 s3, v16, 0x204
	s_delay_alu instid0(VALU_DEP_1) | instskip(NEXT) | instid1(VALU_DEP_1)
	v_cndmask_b32_e64 v6, v6, v16, s3
	v_mul_f32_e64 v4, v4, |v6|
	v_mul_f32_e32 v18, v1, v118
	s_delay_alu instid0(VALU_DEP_2) | instskip(NEXT) | instid1(VALU_DEP_2)
	v_mul_f32_e32 v6, v19, v4
	v_fma_f32 v10, -v3, v18, v1
	s_delay_alu instid0(VALU_DEP_2) | instskip(NEXT) | instid1(VALU_DEP_2)
	v_fmamk_f32 v20, v22, 0x3e701b7a, v6
	v_fmac_f32_e32 v18, v10, v118
	v_mul_f32_e32 v6, v0, v4
	s_delay_alu instid0(VALU_DEP_2) | instskip(SKIP_2) | instid1(VALU_DEP_4)
	v_fma_f32 v1, -v3, v18, v1
	v_fma_f32 v3, -v5, v21, v8
	;; [unrolled: 1-line block ×3, first 2 shown]
	v_fmamk_f32 v116, v22, 0x396c2b78, v6
	s_delay_alu instid0(VALU_DEP_4) | instskip(SKIP_3) | instid1(VALU_DEP_2)
	v_div_fmas_f32 v1, v1, v118, v18
	s_mov_b32 vcc_lo, s0
	v_div_fmas_f32 v3, v3, v119, v21
	s_mov_b32 vcc_lo, s1
	v_div_fixup_f32 v18, v1, v25, 0x41096b0d
	v_mul_f32_e32 v1, v132, v4
	v_div_fmas_f32 v5, v5, v128, v13
	s_mov_b32 vcc_lo, s2
	v_div_fixup_f32 v13, v3, v117, 0x407b535f
	v_div_fmas_f32 v3, v7, v129, v134
	v_fmamk_f32 v21, v22, 0x3c9ddd0b, v1
	v_sub_f32_e32 v1, v22, v20
	v_div_fixup_f32 v7, v5, v23, 0x3fab678a
	v_fmac_f32_e32 v13, v2, v4
	v_fmaak_f32 v5, v115, v15, 0x3c8f228e
	v_div_fixup_f32 v0, v3, v24, 0x3e14ca72
	v_dual_sub_f32 v1, v1, v21 :: v_dual_fmac_f32 v18, v131, v4
	v_fmac_f32_e32 v7, v14, v4
                                        ; implicit-def: $vgpr24
                                        ; implicit-def: $vgpr23
                                        ; implicit-def: $vgpr117
                                        ; implicit-def: $vgpr25
                                        ; implicit-def: $vgpr22
	s_delay_alu instid0(VALU_DEP_3) | instskip(NEXT) | instid1(VALU_DEP_3)
	v_fmac_f32_e32 v0, v5, v4
	v_sub_f32_e32 v19, v1, v116
.LBB0_356:
	s_and_not1_saveexec_b32 s3, s14
	s_cbranch_execz .LBB0_358
; %bb.357:
	v_div_scale_f32 v0, null, v24, v24, 0x3e14ca72
	v_div_scale_f32 v1, null, v23, v23, 0x3fab678a
	;; [unrolled: 1-line block ×3, first 2 shown]
	s_delay_alu instid0(VALU_DEP_3) | instskip(SKIP_1) | instid1(VALU_DEP_3)
	v_rcp_f32_e32 v2, v0
	v_div_scale_f32 v4, null, v25, v25, 0x41096b0d
	v_rcp_f32_e32 v5, v1
	s_delay_alu instid0(VALU_DEP_2) | instskip(SKIP_1) | instid1(VALU_DEP_2)
	v_rcp_f32_e32 v6, v3
	v_div_scale_f32 v10, vcc_lo, 0x3e14ca72, v24, 0x3e14ca72
	v_rcp_f32_e32 v7, v4
	v_mul_f32_e32 v116, 0x396c2b78, v22
	v_mul_f32_e32 v21, 0x3c9ddd0b, v22
	v_fma_f32 v8, -v0, v2, 1.0
	v_mul_f32_e32 v20, 0x3e701b7a, v22
	s_delay_alu instid0(TRANS32_DEP_3) | instskip(NEXT) | instid1(TRANS32_DEP_2)
	v_fma_f32 v9, -v1, v5, 1.0
	v_fma_f32 v11, -v3, v6, 1.0
	s_delay_alu instid0(VALU_DEP_4) | instskip(SKIP_1) | instid1(VALU_DEP_4)
	v_fmac_f32_e32 v2, v8, v2
	v_div_scale_f32 v8, s0, 0x3fab678a, v23, 0x3fab678a
	v_fmac_f32_e32 v5, v9, v5
	v_fma_f32 v12, -v4, v7, 1.0
	v_fmac_f32_e32 v6, v11, v6
	v_div_scale_f32 v9, s1, 0x407b535f, v117, 0x407b535f
	s_delay_alu instid0(VALU_DEP_4) | instskip(NEXT) | instid1(VALU_DEP_4)
	v_mul_f32_e32 v13, v8, v5
	v_dual_fmac_f32 v7, v12, v7 :: v_dual_mul_f32 v12, v10, v2
	v_div_scale_f32 v11, s2, 0x41096b0d, v25, 0x41096b0d
	s_delay_alu instid0(VALU_DEP_4) | instskip(NEXT) | instid1(VALU_DEP_4)
	v_mul_f32_e32 v14, v9, v6
	v_fma_f32 v17, -v1, v13, v8
	s_delay_alu instid0(VALU_DEP_4) | instskip(NEXT) | instid1(VALU_DEP_4)
	v_fma_f32 v16, -v0, v12, v10
	v_mul_f32_e32 v15, v11, v7
	s_delay_alu instid0(VALU_DEP_4) | instskip(NEXT) | instid1(VALU_DEP_3)
	v_fma_f32 v18, -v3, v14, v9
	v_dual_fmac_f32 v13, v17, v5 :: v_dual_fmac_f32 v12, v16, v2
	s_delay_alu instid0(VALU_DEP_3) | instskip(NEXT) | instid1(VALU_DEP_3)
	v_fma_f32 v19, -v4, v15, v11
	v_fmac_f32_e32 v14, v18, v6
	s_delay_alu instid0(VALU_DEP_3) | instskip(NEXT) | instid1(VALU_DEP_4)
	v_fma_f32 v1, -v1, v13, v8
	v_fma_f32 v0, -v0, v12, v10
	s_delay_alu instid0(VALU_DEP_4) | instskip(NEXT) | instid1(VALU_DEP_4)
	v_fmac_f32_e32 v15, v19, v7
	v_fma_f32 v3, -v3, v14, v9
	s_delay_alu instid0(VALU_DEP_3) | instskip(SKIP_1) | instid1(VALU_DEP_3)
	v_div_fmas_f32 v0, v0, v2, v12
	s_mov_b32 vcc_lo, s0
	v_fma_f32 v4, -v4, v15, v11
	v_div_fmas_f32 v1, v1, v5, v13
	s_mov_b32 vcc_lo, s1
	v_div_fixup_f32 v0, v0, v24, 0x3e14ca72
	v_div_fmas_f32 v2, v3, v6, v14
	v_fmamk_f32 v3, v22, 0xbe701b7a, v22
	s_mov_b32 vcc_lo, s2
	v_div_fmas_f32 v4, v4, v7, v15
	v_div_fixup_f32 v7, v1, v23, 0x3fab678a
	s_delay_alu instid0(VALU_DEP_3) | instskip(SKIP_1) | instid1(VALU_DEP_4)
	v_fmamk_f32 v1, v22, 0xbc9ddd0b, v3
	v_div_fixup_f32 v13, v2, v117, 0x407b535f
	v_div_fixup_f32 v18, v4, v25, 0x41096b0d
	s_delay_alu instid0(VALU_DEP_3)
	v_fmamk_f32 v19, v22, 0xb96c2b78, v1
.LBB0_358:
	s_or_b32 exec_lo, exec_lo, s3
.LBB0_359:
	s_delay_alu instid0(SALU_CYCLE_1)
	s_or_b32 exec_lo, exec_lo, s13
.LBB0_360:
	s_delay_alu instid0(SALU_CYCLE_1)
	s_or_b32 exec_lo, exec_lo, s12
.LBB0_361:
	s_delay_alu instid0(SALU_CYCLE_1)
	s_or_b32 exec_lo, exec_lo, s11
.LBB0_362:
	s_delay_alu instid0(SALU_CYCLE_1)
	s_or_b32 exec_lo, exec_lo, s10
.LBB0_363:
	s_delay_alu instid0(SALU_CYCLE_1)
	s_or_b32 exec_lo, exec_lo, s9
.LBB0_364:
	s_delay_alu instid0(SALU_CYCLE_1)
	s_or_b32 exec_lo, exec_lo, s8
.LBB0_365:
	s_delay_alu instid0(SALU_CYCLE_1) | instskip(SKIP_4) | instid1(SALU_CYCLE_1)
	s_or_b32 exec_lo, exec_lo, s6
	v_or_b32_e64 v117, 12, s32
	s_or_b32 s4, s4, exec_lo
	scratch_store_b96 off, v[19:21], s32
                                        ; implicit-def: $vgpr19_vgpr20_vgpr21_vgpr22_vgpr23_vgpr24_vgpr25
	s_or_b32 exec_lo, exec_lo, s7
	s_and_b32 s4, s4, exec_lo
                                        ; implicit-def: $vgpr115
	s_and_not1_saveexec_b32 s5, s5
	s_cbranch_execz .LBB0_44
	s_branch .LBB0_188
.LBB0_366:
	s_or_b32 exec_lo, exec_lo, s37
.LBB0_367:
	s_delay_alu instid0(SALU_CYCLE_1)
	s_or_b32 exec_lo, exec_lo, s36
	v_cmp_gt_f32_e32 vcc_lo, 0xf800000, v55
	v_mul_f32_e32 v0, 0x4f800000, v55
	v_cvt_f32_f64_e32 v3, v[26:27]
	v_cvt_f32_f64_e32 v6, v[30:31]
	v_readlane_b32 s30, v40, 19
	v_readlane_b32 s31, v40, 20
	v_cndmask_b32_e32 v0, v55, v0, vcc_lo
	v_readlane_b32 s52, v40, 18
	v_readlane_b32 s51, v40, 17
	;; [unrolled: 1-line block ×4, first 2 shown]
	v_sqrt_f32_e32 v1, v0
	v_readlane_b32 s48, v40, 14
	v_readlane_b32 s47, v40, 13
	;; [unrolled: 1-line block ×9, first 2 shown]
	v_add_nc_u32_e32 v2, -1, v1
	v_add_nc_u32_e32 v4, 1, v1
	v_readlane_b32 s39, v40, 5
	v_readlane_b32 s38, v40, 4
	;; [unrolled: 1-line block ×3, first 2 shown]
	v_fma_f32 v5, -v2, v1, v0
	v_fma_f32 v7, -v4, v1, v0
	v_readlane_b32 s36, v40, 2
	v_readlane_b32 s35, v40, 1
	;; [unrolled: 1-line block ×3, first 2 shown]
	v_cmp_ge_f32_e64 s0, 0, v5
	s_delay_alu instid0(VALU_DEP_1) | instskip(SKIP_2) | instid1(VALU_DEP_2)
	v_cndmask_b32_e64 v1, v1, v2, s0
	v_cmp_lt_f32_e64 s0, 0, v7
	v_cvt_f32_f64_e32 v2, v[34:35]
	v_cndmask_b32_e64 v1, v1, v4, s0
	v_cvt_f32_f64_e32 v4, v[38:39]
	s_delay_alu instid0(VALU_DEP_2) | instskip(NEXT) | instid1(VALU_DEP_1)
	v_mul_f32_e32 v5, 0x37800000, v1
	v_cndmask_b32_e32 v1, v1, v5, vcc_lo
	v_cmp_class_f32_e64 vcc_lo, v0, 0x260
	s_delay_alu instid0(VALU_DEP_2) | instskip(NEXT) | instid1(VALU_DEP_1)
	v_cndmask_b32_e32 v0, v1, v0, vcc_lo
	v_mul_f32_e32 v0, 0x3f906ebb, v0
	s_delay_alu instid0(VALU_DEP_1) | instskip(NEXT) | instid1(VALU_DEP_1)
	v_mul_f32_e32 v0, v0, v3
	v_mul_f32_e32 v0, v0, v6
	s_delay_alu instid0(VALU_DEP_1) | instskip(NEXT) | instid1(VALU_DEP_1)
	v_mul_f32_e32 v0, v0, v2
	v_mul_f32_e32 v0, v0, v4
	s_delay_alu instid0(VALU_DEP_1)
	v_mul_f32_e32 v0, v0, v24
	s_or_saveexec_b32 s0, -1
	scratch_load_b32 v40, off, s32 offset:228 ; 4-byte Folded Reload
	s_mov_b32 exec_lo, s0
	s_waitcnt vmcnt(0)
	s_setpc_b64 s[30:31]
.LBB0_368:
	s_or_b32 exec_lo, exec_lo, s3
                                        ; implicit-def: $vgpr115
	s_and_not1_saveexec_b32 s3, s8
	s_cbranch_execnz .LBB0_280
.LBB0_369:
	s_or_b32 exec_lo, exec_lo, s3
                                        ; implicit-def: $vgpr115
	s_and_not1_saveexec_b32 s3, s7
	s_cbranch_execnz .LBB0_294
.LBB0_370:
	s_or_b32 exec_lo, exec_lo, s3
                                        ; implicit-def: $vgpr115
	s_and_not1_saveexec_b32 s1, s6
	s_cbranch_execnz .LBB0_308
	s_branch .LBB0_321
.Lfunc_end0:
	.size	_Z12cuda_rys_pbfPKdS0_S0_S0_, .Lfunc_end0-_Z12cuda_rys_pbfPKdS0_S0_S0_
                                        ; -- End function
	.section	.AMDGPU.csdata,"",@progbits
; Function info:
; codeLenInByte = 57196
; NumSgprs: 55
; NumVgprs: 152
; ScratchSize: 240
; MemoryBound: 0
	.text
	.protected	_Z13cuda_mat_J_PIPKdPKiiS0_PdS0_ ; -- Begin function _Z13cuda_mat_J_PIPKdPKiiS0_PdS0_
	.globl	_Z13cuda_mat_J_PIPKdPKiiS0_PdS0_
	.p2align	8
	.type	_Z13cuda_mat_J_PIPKdPKiiS0_PdS0_,@function
_Z13cuda_mat_J_PIPKdPKiiS0_PdS0_:       ; @_Z13cuda_mat_J_PIPKdPKiiS0_PdS0_
; %bb.0:
	s_load_b32 s33, s[0:1], 0x10
	s_mov_b32 s32, 0
	s_waitcnt lgkmcnt(0)
	s_cmp_ge_i32 s14, s33
	s_cselect_b32 s2, -1, 0
	s_cmp_gt_i32 s15, s14
	s_cselect_b32 s3, -1, 0
	s_delay_alu instid0(SALU_CYCLE_1) | instskip(NEXT) | instid1(SALU_CYCLE_1)
	s_or_b32 s2, s3, s2
	s_and_b32 vcc_lo, exec_lo, s2
	s_cbranch_vccnz .LBB1_12
; %bb.1:
	s_load_b64 s[62:63], s[0:1], 0x20
	v_dual_mov_b32 v44, 0 :: v_dual_and_b32 v47, 0x3ff, v0
	v_bfe_u32 v63, v0, 10, 10
	s_mov_b32 s60, s15
	s_mov_b32 s54, s14
	s_delay_alu instid0(VALU_DEP_2) | instskip(SKIP_3) | instid1(VALU_DEP_2)
	v_lshlrev_b32_e32 v1, 3, v47
	v_mov_b32_e32 v43, v44
	s_mov_b32 s53, 0
	s_mov_b32 s74, exec_lo
	v_add_lshl_u32 v72, v1, v63, 3
	ds_store_b64 v72, v[43:44]
	v_cmpx_gt_i32_e64 s33, v47
	s_cbranch_execz .LBB1_10
; %bb.2:
	s_clause 0x1
	s_load_b128 s[56:59], s[0:1], 0x0
	s_load_b64 s[64:65], s[0:1], 0x18
	s_lshl_b32 s2, s54, 3
	s_load_b64 s[66:67], s[0:1], 0x28
	s_ashr_i32 s3, s2, 31
	v_dual_mov_b32 v45, 0 :: v_dual_lshlrev_b32 v0, 2, v63
	s_lshl_b64 s[2:3], s[2:3], 3
	v_dual_mov_b32 v46, 0 :: v_dual_lshlrev_b32 v73, 3, v63
	v_mov_b32_e32 v58, v47
	s_mov_b32 s68, 0x97d889bc
	s_mov_b32 s69, 0x3c9cd2b2
	s_waitcnt lgkmcnt(0)
	s_add_u32 s75, s56, s2
	s_addc_u32 s76, s57, s3
	s_lshl_b32 s2, s60, 3
	s_delay_alu instid0(SALU_CYCLE_1) | instskip(NEXT) | instid1(SALU_CYCLE_1)
	s_ashr_i32 s3, s2, 31
	s_lshl_b64 s[2:3], s[2:3], 3
	s_delay_alu instid0(SALU_CYCLE_1) | instskip(SKIP_2) | instid1(SALU_CYCLE_1)
	s_add_u32 s77, s56, s2
	s_addc_u32 s78, s57, s3
	s_ashr_i32 s55, s54, 31
	s_lshl_b64 s[2:3], s[54:55], 2
	s_delay_alu instid0(SALU_CYCLE_1) | instskip(SKIP_2) | instid1(SALU_CYCLE_1)
	s_add_u32 s2, s58, s2
	s_addc_u32 s3, s59, s3
	s_ashr_i32 s61, s60, 31
	s_lshl_b64 s[4:5], s[60:61], 2
	s_delay_alu instid0(SALU_CYCLE_1)
	s_add_u32 s4, s58, s4
	s_addc_u32 s5, s59, s5
	s_clause 0x1
	s_load_b32 s2, s[2:3], 0x0
	s_load_b32 s3, s[4:5], 0x0
	s_waitcnt lgkmcnt(0)
	s_max_i32 s4, s2, s3
	s_delay_alu instid0(SALU_CYCLE_1) | instskip(NEXT) | instid1(SALU_CYCLE_1)
	s_add_i32 s5, s4, 1
	s_mul_i32 s0, s5, s4
	s_delay_alu instid0(SALU_CYCLE_1) | instskip(NEXT) | instid1(SALU_CYCLE_1)
	s_lshr_b32 s1, s0, 31
	s_add_i32 s0, s0, s1
	s_min_i32 s1, s2, s3
	s_ashr_i32 s0, s0, 1
	v_add_co_u32 v56, s2, s58, v0
	s_add_i32 s0, s0, s1
	v_add_co_ci_u32_e64 v57, null, s59, 0, s2
	s_ashr_i32 s1, s0, 31
	s_delay_alu instid0(SALU_CYCLE_1) | instskip(NEXT) | instid1(SALU_CYCLE_1)
	s_lshl_b64 s[0:1], s[0:1], 3
	s_add_u32 s70, s66, s0
	s_addc_u32 s71, s67, s1
	s_branch .LBB1_5
.LBB1_3:                                ;   in Loop: Header=BB1_5 Depth=1
	s_or_b32 exec_lo, exec_lo, s61
.LBB1_4:                                ;   in Loop: Header=BB1_5 Depth=1
	s_delay_alu instid0(SALU_CYCLE_1) | instskip(SKIP_1) | instid1(VALU_DEP_1)
	s_or_b32 exec_lo, exec_lo, s55
	v_add_nc_u32_e32 v58, 8, v58
	v_cmp_le_i32_e32 vcc_lo, s33, v58
	s_or_b32 s53, vcc_lo, s53
	s_delay_alu instid0(SALU_CYCLE_1)
	s_and_not1_b32 exec_lo, exec_lo, s53
	s_cbranch_execz .LBB1_10
.LBB1_5:                                ; =>This Loop Header: Depth=1
                                        ;     Child Loop BB1_8 Depth 2
	s_mov_b32 s55, exec_lo
	v_cmpx_le_u32_e64 v63, v58
	s_cbranch_execz .LBB1_4
; %bb.6:                                ;   in Loop: Header=BB1_5 Depth=1
	v_mov_b32_e32 v59, v44
	s_load_b64 s[72:73], s[70:71], 0x0
	v_lshlrev_b32_e32 v43, 3, v58
	v_mov_b32_e32 v75, v63
	s_mov_b32 s61, 0
	v_lshlrev_b64 v[0:1], 2, v[58:59]
	v_dual_mov_b32 v60, v57 :: v_dual_mov_b32 v59, v56
	s_delay_alu instid0(VALU_DEP_2) | instskip(NEXT) | instid1(VALU_DEP_3)
	v_add_co_u32 v0, vcc_lo, s58, v0
	v_add_co_ci_u32_e32 v1, vcc_lo, s59, v1, vcc_lo
	global_load_b32 v74, v[0:1], off
	v_lshlrev_b64 v[0:1], 3, v[43:44]
	v_mov_b32_e32 v43, v73
	s_delay_alu instid0(VALU_DEP_2) | instskip(NEXT) | instid1(VALU_DEP_3)
	v_add_co_u32 v41, vcc_lo, s56, v0
	v_add_co_ci_u32_e32 v42, vcc_lo, s57, v1, vcc_lo
	s_branch .LBB1_8
.LBB1_7:                                ;   in Loop: Header=BB1_8 Depth=2
	s_or_b32 exec_lo, exec_lo, s79
	v_add_nc_u32_e32 v75, 8, v75
	v_add_co_u32 v59, s0, v59, 32
	s_delay_alu instid0(VALU_DEP_1) | instskip(NEXT) | instid1(VALU_DEP_3)
	v_add_co_ci_u32_e64 v60, s0, 0, v60, s0
	v_cmp_gt_u32_e32 vcc_lo, v75, v58
	v_add_nc_u32_e32 v43, 64, v43
	s_or_b32 s61, vcc_lo, s61
	s_delay_alu instid0(SALU_CYCLE_1)
	s_and_not1_b32 exec_lo, exec_lo, s61
	s_cbranch_execz .LBB1_3
.LBB1_8:                                ;   Parent Loop BB1_5 Depth=1
                                        ; =>  This Inner Loop Header: Depth=2
	global_load_b32 v3, v[59:60], off
	s_mov_b32 s79, exec_lo
	s_waitcnt vmcnt(0)
	v_max_i32_e32 v0, v74, v3
	s_delay_alu instid0(VALU_DEP_1) | instskip(NEXT) | instid1(VALU_DEP_1)
	v_mad_u64_u32 v[1:2], null, v0, v0, v[0:1]
	v_lshrrev_b32_e32 v0, 31, v1
	s_delay_alu instid0(VALU_DEP_1) | instskip(SKIP_1) | instid1(VALU_DEP_2)
	v_add_nc_u32_e32 v0, v1, v0
	v_min_i32_e32 v1, v74, v3
	v_ashrrev_i32_e32 v0, 1, v0
	s_delay_alu instid0(VALU_DEP_1) | instskip(NEXT) | instid1(VALU_DEP_1)
	v_add_nc_u32_e32 v0, v0, v1
	v_ashrrev_i32_e32 v1, 31, v0
	s_delay_alu instid0(VALU_DEP_1) | instskip(NEXT) | instid1(VALU_DEP_1)
	v_lshlrev_b64 v[0:1], 3, v[0:1]
	v_add_co_u32 v2, vcc_lo, s66, v0
	s_delay_alu instid0(VALU_DEP_2)
	v_add_co_ci_u32_e32 v3, vcc_lo, s67, v1, vcc_lo
	v_add_co_u32 v0, vcc_lo, s64, v0
	v_add_co_ci_u32_e32 v1, vcc_lo, s65, v1, vcc_lo
	global_load_b64 v[2:3], v[2:3], off
	global_load_b64 v[61:62], v[0:1], off
	s_waitcnt vmcnt(1) lgkmcnt(0)
	v_mul_f64 v[0:1], s[72:73], v[2:3]
	s_waitcnt vmcnt(0)
	s_delay_alu instid0(VALU_DEP_1) | instskip(NEXT) | instid1(VALU_DEP_1)
	v_mul_f64 v[0:1], v[0:1], v[61:62]
	v_cmpx_nlt_f64_e64 |v[0:1]|, s[68:69]
	s_cbranch_execz .LBB1_7
; %bb.9:                                ;   in Loop: Header=BB1_8 Depth=2
	v_lshlrev_b64 v[0:1], 3, v[43:44]
	v_dual_mov_b32 v2, s77 :: v_dual_mov_b32 v3, s78
	v_dual_mov_b32 v4, v41 :: v_dual_mov_b32 v5, v42
	s_getpc_b64 s[0:1]
	s_add_u32 s0, s0, _Z12cuda_rys_pbfPKdS0_S0_S0_@rel32@lo+4
	s_addc_u32 s1, s1, _Z12cuda_rys_pbfPKdS0_S0_S0_@rel32@hi+12
	v_add_co_u32 v6, vcc_lo, s56, v0
	v_add_co_ci_u32_e32 v7, vcc_lo, s57, v1, vcc_lo
	v_dual_mov_b32 v0, s75 :: v_dual_mov_b32 v1, s76
	s_swappc_b64 s[30:31], s[0:1]
	s_delay_alu instid0(VALU_DEP_1) | instskip(SKIP_3) | instid1(VALU_DEP_4)
	v_cvt_f64_f32_e32 v[0:1], v0
	v_cmp_eq_u32_e32 vcc_lo, v58, v75
	v_mov_b32_e32 v2, v44
	v_cndmask_b32_e64 v3, 2.0, 0x3ff00000, vcc_lo
	v_mul_f64 v[0:1], v[61:62], v[0:1]
	s_delay_alu instid0(VALU_DEP_1)
	v_fma_f64 v[45:46], v[2:3], v[0:1], v[45:46]
	ds_store_b64 v72, v[45:46]
	s_branch .LBB1_7
.LBB1_10:
	s_or_b32 exec_lo, exec_lo, s74
	v_or_b32_e32 v0, v47, v63
	s_waitcnt lgkmcnt(0)
	s_waitcnt_vscnt null, 0x0
	s_barrier
	buffer_gl0_inv
	s_mov_b32 s0, exec_lo
	v_cmpx_eq_u32_e32 0, v0
	s_cbranch_execz .LBB1_12
; %bb.11:
	v_mov_b32_e32 v0, 0
	s_add_i32 s0, s54, 1
	ds_load_b128 v[1:4], v0
	ds_load_b128 v[5:8], v0 offset:16
	s_mul_i32 s0, s0, s54
	s_delay_alu instid0(SALU_CYCLE_1) | instskip(NEXT) | instid1(SALU_CYCLE_1)
	s_lshr_b32 s1, s0, 31
	s_add_i32 s0, s0, s1
	s_delay_alu instid0(SALU_CYCLE_1) | instskip(NEXT) | instid1(SALU_CYCLE_1)
	s_ashr_i32 s0, s0, 1
	s_add_i32 s0, s0, s60
	s_delay_alu instid0(SALU_CYCLE_1) | instskip(NEXT) | instid1(SALU_CYCLE_1)
	s_ashr_i32 s1, s0, 31
	s_lshl_b64 s[0:1], s[0:1], 3
	s_delay_alu instid0(SALU_CYCLE_1) | instskip(SKIP_3) | instid1(VALU_DEP_1)
	s_add_u32 s0, s62, s0
	s_addc_u32 s1, s63, s1
	s_waitcnt lgkmcnt(1)
	v_add_f64 v[1:2], v[1:2], 0
	v_add_f64 v[1:2], v[3:4], v[1:2]
	s_waitcnt lgkmcnt(0)
	s_delay_alu instid0(VALU_DEP_1) | instskip(NEXT) | instid1(VALU_DEP_1)
	v_add_f64 v[1:2], v[5:6], v[1:2]
	v_add_f64 v[9:10], v[7:8], v[1:2]
	ds_load_b128 v[1:4], v0 offset:32
	ds_load_b128 v[5:8], v0 offset:48
	s_waitcnt lgkmcnt(1)
	v_add_f64 v[1:2], v[1:2], v[9:10]
	s_delay_alu instid0(VALU_DEP_1) | instskip(SKIP_1) | instid1(VALU_DEP_1)
	v_add_f64 v[1:2], v[3:4], v[1:2]
	s_waitcnt lgkmcnt(0)
	v_add_f64 v[1:2], v[5:6], v[1:2]
	s_delay_alu instid0(VALU_DEP_1) | instskip(SKIP_4) | instid1(VALU_DEP_1)
	v_add_f64 v[9:10], v[7:8], v[1:2]
	ds_load_b128 v[1:4], v0 offset:64
	ds_load_b128 v[5:8], v0 offset:80
	s_waitcnt lgkmcnt(1)
	v_add_f64 v[1:2], v[1:2], v[9:10]
	v_add_f64 v[1:2], v[3:4], v[1:2]
	s_waitcnt lgkmcnt(0)
	s_delay_alu instid0(VALU_DEP_1) | instskip(NEXT) | instid1(VALU_DEP_1)
	v_add_f64 v[1:2], v[5:6], v[1:2]
	v_add_f64 v[9:10], v[7:8], v[1:2]
	ds_load_b128 v[1:4], v0 offset:96
	ds_load_b128 v[5:8], v0 offset:112
	s_waitcnt lgkmcnt(1)
	v_add_f64 v[1:2], v[1:2], v[9:10]
	s_delay_alu instid0(VALU_DEP_1) | instskip(SKIP_1) | instid1(VALU_DEP_1)
	v_add_f64 v[1:2], v[3:4], v[1:2]
	s_waitcnt lgkmcnt(0)
	v_add_f64 v[1:2], v[5:6], v[1:2]
	s_delay_alu instid0(VALU_DEP_1) | instskip(SKIP_4) | instid1(VALU_DEP_1)
	v_add_f64 v[9:10], v[7:8], v[1:2]
	ds_load_b128 v[1:4], v0 offset:128
	ds_load_b128 v[5:8], v0 offset:144
	s_waitcnt lgkmcnt(1)
	v_add_f64 v[1:2], v[1:2], v[9:10]
	v_add_f64 v[1:2], v[3:4], v[1:2]
	s_waitcnt lgkmcnt(0)
	s_delay_alu instid0(VALU_DEP_1) | instskip(NEXT) | instid1(VALU_DEP_1)
	v_add_f64 v[1:2], v[5:6], v[1:2]
	v_add_f64 v[9:10], v[7:8], v[1:2]
	ds_load_b128 v[1:4], v0 offset:160
	ds_load_b128 v[5:8], v0 offset:176
	s_waitcnt lgkmcnt(1)
	v_add_f64 v[1:2], v[1:2], v[9:10]
	s_delay_alu instid0(VALU_DEP_1) | instskip(SKIP_1) | instid1(VALU_DEP_1)
	v_add_f64 v[1:2], v[3:4], v[1:2]
	s_waitcnt lgkmcnt(0)
	v_add_f64 v[1:2], v[5:6], v[1:2]
	s_delay_alu instid0(VALU_DEP_1) | instskip(SKIP_4) | instid1(VALU_DEP_1)
	v_add_f64 v[9:10], v[7:8], v[1:2]
	ds_load_b128 v[1:4], v0 offset:192
	ds_load_b128 v[5:8], v0 offset:208
	s_waitcnt lgkmcnt(1)
	v_add_f64 v[1:2], v[1:2], v[9:10]
	v_add_f64 v[1:2], v[3:4], v[1:2]
	s_waitcnt lgkmcnt(0)
	s_delay_alu instid0(VALU_DEP_1) | instskip(NEXT) | instid1(VALU_DEP_1)
	v_add_f64 v[1:2], v[5:6], v[1:2]
	v_add_f64 v[9:10], v[7:8], v[1:2]
	ds_load_b128 v[1:4], v0 offset:224
	ds_load_b128 v[5:8], v0 offset:240
	s_waitcnt lgkmcnt(1)
	v_add_f64 v[1:2], v[1:2], v[9:10]
	s_delay_alu instid0(VALU_DEP_1) | instskip(SKIP_1) | instid1(VALU_DEP_1)
	v_add_f64 v[1:2], v[3:4], v[1:2]
	s_waitcnt lgkmcnt(0)
	v_add_f64 v[1:2], v[5:6], v[1:2]
	s_delay_alu instid0(VALU_DEP_1) | instskip(SKIP_4) | instid1(VALU_DEP_1)
	v_add_f64 v[9:10], v[7:8], v[1:2]
	ds_load_b128 v[1:4], v0 offset:256
	ds_load_b128 v[5:8], v0 offset:272
	s_waitcnt lgkmcnt(1)
	v_add_f64 v[1:2], v[1:2], v[9:10]
	v_add_f64 v[1:2], v[3:4], v[1:2]
	s_waitcnt lgkmcnt(0)
	s_delay_alu instid0(VALU_DEP_1) | instskip(NEXT) | instid1(VALU_DEP_1)
	v_add_f64 v[1:2], v[5:6], v[1:2]
	v_add_f64 v[9:10], v[7:8], v[1:2]
	ds_load_b128 v[1:4], v0 offset:288
	ds_load_b128 v[5:8], v0 offset:304
	s_waitcnt lgkmcnt(1)
	v_add_f64 v[1:2], v[1:2], v[9:10]
	s_delay_alu instid0(VALU_DEP_1) | instskip(SKIP_1) | instid1(VALU_DEP_1)
	v_add_f64 v[1:2], v[3:4], v[1:2]
	s_waitcnt lgkmcnt(0)
	v_add_f64 v[1:2], v[5:6], v[1:2]
	s_delay_alu instid0(VALU_DEP_1) | instskip(SKIP_4) | instid1(VALU_DEP_1)
	v_add_f64 v[9:10], v[7:8], v[1:2]
	ds_load_b128 v[1:4], v0 offset:320
	ds_load_b128 v[5:8], v0 offset:336
	s_waitcnt lgkmcnt(1)
	v_add_f64 v[1:2], v[1:2], v[9:10]
	v_add_f64 v[1:2], v[3:4], v[1:2]
	s_waitcnt lgkmcnt(0)
	s_delay_alu instid0(VALU_DEP_1) | instskip(NEXT) | instid1(VALU_DEP_1)
	v_add_f64 v[1:2], v[5:6], v[1:2]
	v_add_f64 v[9:10], v[7:8], v[1:2]
	ds_load_b128 v[1:4], v0 offset:352
	ds_load_b128 v[5:8], v0 offset:368
	s_waitcnt lgkmcnt(1)
	v_add_f64 v[1:2], v[1:2], v[9:10]
	s_delay_alu instid0(VALU_DEP_1) | instskip(SKIP_1) | instid1(VALU_DEP_1)
	v_add_f64 v[1:2], v[3:4], v[1:2]
	s_waitcnt lgkmcnt(0)
	v_add_f64 v[1:2], v[5:6], v[1:2]
	s_delay_alu instid0(VALU_DEP_1) | instskip(SKIP_4) | instid1(VALU_DEP_1)
	v_add_f64 v[9:10], v[7:8], v[1:2]
	ds_load_b128 v[1:4], v0 offset:384
	ds_load_b128 v[5:8], v0 offset:400
	s_waitcnt lgkmcnt(1)
	v_add_f64 v[1:2], v[1:2], v[9:10]
	v_add_f64 v[1:2], v[3:4], v[1:2]
	s_waitcnt lgkmcnt(0)
	s_delay_alu instid0(VALU_DEP_1) | instskip(NEXT) | instid1(VALU_DEP_1)
	v_add_f64 v[1:2], v[5:6], v[1:2]
	v_add_f64 v[9:10], v[7:8], v[1:2]
	ds_load_b128 v[1:4], v0 offset:416
	ds_load_b128 v[5:8], v0 offset:432
	s_waitcnt lgkmcnt(1)
	v_add_f64 v[1:2], v[1:2], v[9:10]
	s_delay_alu instid0(VALU_DEP_1) | instskip(SKIP_1) | instid1(VALU_DEP_1)
	v_add_f64 v[1:2], v[3:4], v[1:2]
	s_waitcnt lgkmcnt(0)
	v_add_f64 v[1:2], v[5:6], v[1:2]
	s_delay_alu instid0(VALU_DEP_1) | instskip(SKIP_4) | instid1(VALU_DEP_1)
	v_add_f64 v[9:10], v[7:8], v[1:2]
	ds_load_b128 v[1:4], v0 offset:448
	ds_load_b128 v[5:8], v0 offset:464
	s_waitcnt lgkmcnt(1)
	v_add_f64 v[1:2], v[1:2], v[9:10]
	v_add_f64 v[1:2], v[3:4], v[1:2]
	s_waitcnt lgkmcnt(0)
	s_delay_alu instid0(VALU_DEP_1) | instskip(NEXT) | instid1(VALU_DEP_1)
	v_add_f64 v[1:2], v[5:6], v[1:2]
	v_add_f64 v[9:10], v[7:8], v[1:2]
	ds_load_b128 v[1:4], v0 offset:480
	ds_load_b128 v[5:8], v0 offset:496
	s_waitcnt lgkmcnt(1)
	v_add_f64 v[1:2], v[1:2], v[9:10]
	s_delay_alu instid0(VALU_DEP_1) | instskip(SKIP_1) | instid1(VALU_DEP_1)
	v_add_f64 v[1:2], v[3:4], v[1:2]
	s_waitcnt lgkmcnt(0)
	v_add_f64 v[1:2], v[5:6], v[1:2]
	s_delay_alu instid0(VALU_DEP_1)
	v_add_f64 v[1:2], v[7:8], v[1:2]
	global_store_b64 v0, v[1:2], s[0:1]
.LBB1_12:
	s_nop 0
	s_sendmsg sendmsg(MSG_DEALLOC_VGPRS)
	s_endpgm
	.section	.rodata,"a",@progbits
	.p2align	6, 0x0
	.amdhsa_kernel _Z13cuda_mat_J_PIPKdPKiiS0_PdS0_
		.amdhsa_group_segment_fixed_size 512
		.amdhsa_private_segment_fixed_size 240
		.amdhsa_kernarg_size 48
		.amdhsa_user_sgpr_count 14
		.amdhsa_user_sgpr_dispatch_ptr 0
		.amdhsa_user_sgpr_queue_ptr 0
		.amdhsa_user_sgpr_kernarg_segment_ptr 1
		.amdhsa_user_sgpr_dispatch_id 0
		.amdhsa_user_sgpr_private_segment_size 0
		.amdhsa_wavefront_size32 1
		.amdhsa_uses_dynamic_stack 0
		.amdhsa_enable_private_segment 1
		.amdhsa_system_sgpr_workgroup_id_x 1
		.amdhsa_system_sgpr_workgroup_id_y 1
		.amdhsa_system_sgpr_workgroup_id_z 0
		.amdhsa_system_sgpr_workgroup_info 0
		.amdhsa_system_vgpr_workitem_id 1
		.amdhsa_next_free_vgpr 152
		.amdhsa_next_free_sgpr 80
		.amdhsa_reserve_vcc 1
		.amdhsa_float_round_mode_32 0
		.amdhsa_float_round_mode_16_64 0
		.amdhsa_float_denorm_mode_32 3
		.amdhsa_float_denorm_mode_16_64 3
		.amdhsa_dx10_clamp 1
		.amdhsa_ieee_mode 1
		.amdhsa_fp16_overflow 0
		.amdhsa_workgroup_processor_mode 1
		.amdhsa_memory_ordered 1
		.amdhsa_forward_progress 0
		.amdhsa_shared_vgpr_count 0
		.amdhsa_exception_fp_ieee_invalid_op 0
		.amdhsa_exception_fp_denorm_src 0
		.amdhsa_exception_fp_ieee_div_zero 0
		.amdhsa_exception_fp_ieee_overflow 0
		.amdhsa_exception_fp_ieee_underflow 0
		.amdhsa_exception_fp_ieee_inexact 0
		.amdhsa_exception_int_div_zero 0
	.end_amdhsa_kernel
	.text
.Lfunc_end1:
	.size	_Z13cuda_mat_J_PIPKdPKiiS0_PdS0_, .Lfunc_end1-_Z13cuda_mat_J_PIPKdPKiiS0_PdS0_
                                        ; -- End function
	.section	.AMDGPU.csdata,"",@progbits
; Kernel info:
; codeLenInByte = 1992
; NumSgprs: 82
; NumVgprs: 152
; ScratchSize: 240
; MemoryBound: 0
; FloatMode: 240
; IeeeMode: 1
; LDSByteSize: 512 bytes/workgroup (compile time only)
; SGPRBlocks: 10
; VGPRBlocks: 18
; NumSGPRsForWavesPerEU: 82
; NumVGPRsForWavesPerEU: 152
; Occupancy: 9
; WaveLimiterHint : 0
; COMPUTE_PGM_RSRC2:SCRATCH_EN: 1
; COMPUTE_PGM_RSRC2:USER_SGPR: 14
; COMPUTE_PGM_RSRC2:TRAP_HANDLER: 0
; COMPUTE_PGM_RSRC2:TGID_X_EN: 1
; COMPUTE_PGM_RSRC2:TGID_Y_EN: 1
; COMPUTE_PGM_RSRC2:TGID_Z_EN: 0
; COMPUTE_PGM_RSRC2:TIDIG_COMP_CNT: 1
	.text
	.protected	_Z13cuda_mat_K_PIPKdPKiiS0_PdS0_ ; -- Begin function _Z13cuda_mat_K_PIPKdPKiiS0_PdS0_
	.globl	_Z13cuda_mat_K_PIPKdPKiiS0_PdS0_
	.p2align	8
	.type	_Z13cuda_mat_K_PIPKdPKiiS0_PdS0_,@function
_Z13cuda_mat_K_PIPKdPKiiS0_PdS0_:       ; @_Z13cuda_mat_K_PIPKdPKiiS0_PdS0_
; %bb.0:
	s_load_b32 s53, s[0:1], 0x10
	s_mov_b32 s32, 0
	s_waitcnt lgkmcnt(0)
	s_cmp_ge_i32 s14, s53
	s_cselect_b32 s2, -1, 0
	s_cmp_gt_i32 s15, s14
	s_cselect_b32 s3, -1, 0
	s_delay_alu instid0(SALU_CYCLE_1) | instskip(NEXT) | instid1(SALU_CYCLE_1)
	s_or_b32 s2, s3, s2
	s_and_b32 vcc_lo, exec_lo, s2
	s_cbranch_vccnz .LBB2_12
; %bb.1:
	s_load_b64 s[62:63], s[0:1], 0x20
	v_dual_mov_b32 v44, 0 :: v_dual_and_b32 v47, 0x3ff, v0
	v_bfe_u32 v63, v0, 10, 10
	s_mov_b32 s60, s15
	s_mov_b32 s54, s14
	s_delay_alu instid0(VALU_DEP_2) | instskip(SKIP_3) | instid1(VALU_DEP_2)
	v_lshlrev_b32_e32 v1, 3, v47
	v_mov_b32_e32 v43, v44
	s_mov_b32 s70, 0
	s_mov_b32 s71, exec_lo
	v_add_lshl_u32 v74, v1, v63, 3
	ds_store_b64 v74, v[43:44]
	v_cmpx_gt_i32_e64 s53, v47
	s_cbranch_execz .LBB2_10
; %bb.2:
	s_clause 0x1
	s_load_b128 s[56:59], s[0:1], 0x0
	s_load_b64 s[64:65], s[0:1], 0x18
	s_lshl_b32 s2, s54, 3
	s_load_b64 s[66:67], s[0:1], 0x28
	s_ashr_i32 s3, s2, 31
	v_lshlrev_b32_e32 v0, 2, v63
	s_lshl_b64 s[2:3], s[2:3], 3
	v_dual_mov_b32 v56, 0 :: v_dual_lshlrev_b32 v75, 3, v63
	v_mov_b32_e32 v57, 0
	v_cmp_gt_u32_e64 s33, s53, v63
	v_mov_b32_e32 v58, v47
	s_mov_b32 s68, 0x97d889bc
	s_mov_b32 s69, 0x3c9cd2b2
	s_waitcnt lgkmcnt(0)
	s_add_u32 s72, s56, s2
	s_addc_u32 s73, s57, s3
	s_lshl_b32 s2, s60, 3
	s_delay_alu instid0(SALU_CYCLE_1) | instskip(NEXT) | instid1(SALU_CYCLE_1)
	s_ashr_i32 s3, s2, 31
	s_lshl_b64 s[2:3], s[2:3], 3
	s_delay_alu instid0(SALU_CYCLE_1) | instskip(SKIP_2) | instid1(SALU_CYCLE_1)
	s_add_u32 s74, s56, s2
	s_addc_u32 s75, s57, s3
	s_ashr_i32 s55, s54, 31
	s_lshl_b64 s[2:3], s[54:55], 2
	s_delay_alu instid0(SALU_CYCLE_1) | instskip(SKIP_2) | instid1(SALU_CYCLE_1)
	s_add_u32 s2, s58, s2
	s_addc_u32 s3, s59, s3
	s_ashr_i32 s61, s60, 31
	s_lshl_b64 s[4:5], s[60:61], 2
	s_delay_alu instid0(SALU_CYCLE_1)
	s_add_u32 s0, s58, s4
	s_addc_u32 s1, s59, s5
	s_clause 0x1
	s_load_b32 s55, s[2:3], 0x0
	s_load_b32 s61, s[0:1], 0x0
	v_add_co_u32 v45, s0, s58, v0
	s_delay_alu instid0(VALU_DEP_1)
	v_add_co_ci_u32_e64 v46, null, s59, 0, s0
	s_branch .LBB2_5
.LBB2_3:                                ;   in Loop: Header=BB2_5 Depth=1
	s_or_b32 exec_lo, exec_lo, s77
.LBB2_4:                                ;   in Loop: Header=BB2_5 Depth=1
	s_delay_alu instid0(SALU_CYCLE_1) | instskip(SKIP_1) | instid1(VALU_DEP_1)
	s_or_b32 exec_lo, exec_lo, s76
	v_add_nc_u32_e32 v58, 8, v58
	v_cmp_le_i32_e32 vcc_lo, s53, v58
	s_or_b32 s70, vcc_lo, s70
	s_delay_alu instid0(SALU_CYCLE_1)
	s_and_not1_b32 exec_lo, exec_lo, s70
	s_cbranch_execz .LBB2_10
.LBB2_5:                                ; =>This Loop Header: Depth=1
                                        ;     Child Loop BB2_8 Depth 2
	s_and_saveexec_b32 s76, s33
	s_cbranch_execz .LBB2_4
; %bb.6:                                ;   in Loop: Header=BB2_5 Depth=1
	v_mov_b32_e32 v59, v44
	v_dual_mov_b32 v62, v46 :: v_dual_lshlrev_b32 v43, 3, v58
	v_mov_b32_e32 v61, v45
	v_mov_b32_e32 v77, v63
	s_delay_alu instid0(VALU_DEP_4) | instskip(SKIP_1) | instid1(VALU_DEP_1)
	v_lshlrev_b64 v[0:1], 2, v[58:59]
	s_mov_b32 s77, 0
	v_add_co_u32 v0, vcc_lo, s58, v0
	s_delay_alu instid0(VALU_DEP_2) | instskip(SKIP_3) | instid1(VALU_DEP_1)
	v_add_co_ci_u32_e32 v1, vcc_lo, s59, v1, vcc_lo
	global_load_b32 v76, v[0:1], off
	s_waitcnt vmcnt(0) lgkmcnt(0)
	v_max_i32_e32 v0, s55, v76
	v_mad_u64_u32 v[1:2], null, v0, v0, v[0:1]
	s_delay_alu instid0(VALU_DEP_1) | instskip(NEXT) | instid1(VALU_DEP_1)
	v_lshrrev_b32_e32 v0, 31, v1
	v_add_nc_u32_e32 v0, v1, v0
	v_min_i32_e32 v1, s55, v76
	s_delay_alu instid0(VALU_DEP_2) | instskip(NEXT) | instid1(VALU_DEP_1)
	v_ashrrev_i32_e32 v0, 1, v0
	v_add_nc_u32_e32 v0, v0, v1
	s_delay_alu instid0(VALU_DEP_1) | instskip(NEXT) | instid1(VALU_DEP_1)
	v_ashrrev_i32_e32 v1, 31, v0
	v_lshlrev_b64 v[0:1], 3, v[0:1]
	s_delay_alu instid0(VALU_DEP_1) | instskip(NEXT) | instid1(VALU_DEP_2)
	v_add_co_u32 v0, vcc_lo, s66, v0
	v_add_co_ci_u32_e32 v1, vcc_lo, s67, v1, vcc_lo
	global_load_b64 v[59:60], v[0:1], off
	v_lshlrev_b64 v[0:1], 3, v[43:44]
	v_mov_b32_e32 v43, v75
	s_delay_alu instid0(VALU_DEP_2) | instskip(NEXT) | instid1(VALU_DEP_3)
	v_add_co_u32 v41, vcc_lo, s56, v0
	v_add_co_ci_u32_e32 v42, vcc_lo, s57, v1, vcc_lo
	s_branch .LBB2_8
.LBB2_7:                                ;   in Loop: Header=BB2_8 Depth=2
	s_or_b32 exec_lo, exec_lo, s78
	v_add_nc_u32_e32 v77, 8, v77
	v_add_co_u32 v61, s0, v61, 32
	s_delay_alu instid0(VALU_DEP_1) | instskip(NEXT) | instid1(VALU_DEP_3)
	v_add_co_ci_u32_e64 v62, s0, 0, v62, s0
	v_cmp_le_i32_e32 vcc_lo, s53, v77
	v_add_nc_u32_e32 v43, 64, v43
	s_or_b32 s77, vcc_lo, s77
	s_delay_alu instid0(SALU_CYCLE_1)
	s_and_not1_b32 exec_lo, exec_lo, s77
	s_cbranch_execz .LBB2_3
.LBB2_8:                                ;   Parent Loop BB2_5 Depth=1
                                        ; =>  This Inner Loop Header: Depth=2
	global_load_b32 v5, v[61:62], off
	s_mov_b32 s78, exec_lo
	s_waitcnt vmcnt(0)
	v_max_i32_e32 v0, s61, v5
	s_delay_alu instid0(VALU_DEP_1) | instskip(SKIP_1) | instid1(VALU_DEP_1)
	v_mad_u64_u32 v[1:2], null, v0, v0, v[0:1]
	v_max_i32_e32 v2, v76, v5
	v_mad_u64_u32 v[3:4], null, v2, v2, v[2:3]
	s_delay_alu instid0(VALU_DEP_3) | instskip(NEXT) | instid1(VALU_DEP_1)
	v_lshrrev_b32_e32 v0, 31, v1
	v_add_nc_u32_e32 v0, v1, v0
	v_min_i32_e32 v1, s61, v5
	s_delay_alu instid0(VALU_DEP_4) | instskip(NEXT) | instid1(VALU_DEP_3)
	v_lshrrev_b32_e32 v2, 31, v3
	v_ashrrev_i32_e32 v0, 1, v0
	s_delay_alu instid0(VALU_DEP_2) | instskip(SKIP_1) | instid1(VALU_DEP_3)
	v_add_nc_u32_e32 v2, v3, v2
	v_min_i32_e32 v3, v76, v5
	v_add_nc_u32_e32 v0, v0, v1
	s_delay_alu instid0(VALU_DEP_3) | instskip(NEXT) | instid1(VALU_DEP_2)
	v_ashrrev_i32_e32 v2, 1, v2
	v_ashrrev_i32_e32 v1, 31, v0
	s_delay_alu instid0(VALU_DEP_2) | instskip(NEXT) | instid1(VALU_DEP_2)
	v_add_nc_u32_e32 v2, v2, v3
	v_lshlrev_b64 v[0:1], 3, v[0:1]
	s_delay_alu instid0(VALU_DEP_2) | instskip(NEXT) | instid1(VALU_DEP_2)
	v_ashrrev_i32_e32 v3, 31, v2
	v_add_co_u32 v0, vcc_lo, s66, v0
	s_delay_alu instid0(VALU_DEP_3) | instskip(NEXT) | instid1(VALU_DEP_3)
	v_add_co_ci_u32_e32 v1, vcc_lo, s67, v1, vcc_lo
	v_lshlrev_b64 v[2:3], 3, v[2:3]
	global_load_b64 v[0:1], v[0:1], off
	v_add_co_u32 v2, vcc_lo, s64, v2
	v_add_co_ci_u32_e32 v3, vcc_lo, s65, v3, vcc_lo
	global_load_b64 v[72:73], v[2:3], off
	s_waitcnt vmcnt(1)
	v_mul_f64 v[0:1], v[59:60], v[0:1]
	s_waitcnt vmcnt(0)
	s_delay_alu instid0(VALU_DEP_1) | instskip(NEXT) | instid1(VALU_DEP_1)
	v_mul_f64 v[0:1], v[0:1], v[72:73]
	v_cmpx_nlt_f64_e64 |v[0:1]|, s[68:69]
	s_cbranch_execz .LBB2_7
; %bb.9:                                ;   in Loop: Header=BB2_8 Depth=2
	v_lshlrev_b64 v[0:1], 3, v[43:44]
	v_dual_mov_b32 v2, v41 :: v_dual_mov_b32 v3, v42
	v_dual_mov_b32 v4, s74 :: v_dual_mov_b32 v5, s75
	s_getpc_b64 s[0:1]
	s_add_u32 s0, s0, _Z12cuda_rys_pbfPKdS0_S0_S0_@rel32@lo+4
	s_addc_u32 s1, s1, _Z12cuda_rys_pbfPKdS0_S0_S0_@rel32@hi+12
	v_add_co_u32 v6, vcc_lo, s56, v0
	v_add_co_ci_u32_e32 v7, vcc_lo, s57, v1, vcc_lo
	v_dual_mov_b32 v0, s72 :: v_dual_mov_b32 v1, s73
	s_swappc_b64 s[30:31], s[0:1]
	s_delay_alu instid0(VALU_DEP_1) | instskip(NEXT) | instid1(VALU_DEP_1)
	v_cvt_f64_f32_e32 v[0:1], v0
	v_fma_f64 v[56:57], v[72:73], v[0:1], v[56:57]
	ds_store_b64 v74, v[56:57]
	s_branch .LBB2_7
.LBB2_10:
	s_or_b32 exec_lo, exec_lo, s71
	v_or_b32_e32 v0, v47, v63
	s_waitcnt lgkmcnt(0)
	s_waitcnt_vscnt null, 0x0
	s_barrier
	buffer_gl0_inv
	s_mov_b32 s0, exec_lo
	v_cmpx_eq_u32_e32 0, v0
	s_cbranch_execz .LBB2_12
; %bb.11:
	v_mov_b32_e32 v0, 0
	s_add_i32 s0, s54, 1
	ds_load_b128 v[1:4], v0
	ds_load_b128 v[5:8], v0 offset:16
	s_mul_i32 s0, s0, s54
	s_delay_alu instid0(SALU_CYCLE_1) | instskip(NEXT) | instid1(SALU_CYCLE_1)
	s_lshr_b32 s1, s0, 31
	s_add_i32 s0, s0, s1
	s_delay_alu instid0(SALU_CYCLE_1) | instskip(NEXT) | instid1(SALU_CYCLE_1)
	s_ashr_i32 s0, s0, 1
	s_add_i32 s0, s0, s60
	s_delay_alu instid0(SALU_CYCLE_1) | instskip(NEXT) | instid1(SALU_CYCLE_1)
	s_ashr_i32 s1, s0, 31
	s_lshl_b64 s[0:1], s[0:1], 3
	s_delay_alu instid0(SALU_CYCLE_1) | instskip(SKIP_3) | instid1(VALU_DEP_1)
	s_add_u32 s0, s62, s0
	s_addc_u32 s1, s63, s1
	s_waitcnt lgkmcnt(1)
	v_add_f64 v[1:2], v[1:2], 0
	v_add_f64 v[1:2], v[3:4], v[1:2]
	s_waitcnt lgkmcnt(0)
	s_delay_alu instid0(VALU_DEP_1) | instskip(NEXT) | instid1(VALU_DEP_1)
	v_add_f64 v[1:2], v[5:6], v[1:2]
	v_add_f64 v[9:10], v[7:8], v[1:2]
	ds_load_b128 v[1:4], v0 offset:32
	ds_load_b128 v[5:8], v0 offset:48
	s_waitcnt lgkmcnt(1)
	v_add_f64 v[1:2], v[1:2], v[9:10]
	s_delay_alu instid0(VALU_DEP_1) | instskip(SKIP_1) | instid1(VALU_DEP_1)
	v_add_f64 v[1:2], v[3:4], v[1:2]
	s_waitcnt lgkmcnt(0)
	v_add_f64 v[1:2], v[5:6], v[1:2]
	s_delay_alu instid0(VALU_DEP_1) | instskip(SKIP_4) | instid1(VALU_DEP_1)
	v_add_f64 v[9:10], v[7:8], v[1:2]
	ds_load_b128 v[1:4], v0 offset:64
	ds_load_b128 v[5:8], v0 offset:80
	s_waitcnt lgkmcnt(1)
	v_add_f64 v[1:2], v[1:2], v[9:10]
	v_add_f64 v[1:2], v[3:4], v[1:2]
	s_waitcnt lgkmcnt(0)
	s_delay_alu instid0(VALU_DEP_1) | instskip(NEXT) | instid1(VALU_DEP_1)
	v_add_f64 v[1:2], v[5:6], v[1:2]
	v_add_f64 v[9:10], v[7:8], v[1:2]
	ds_load_b128 v[1:4], v0 offset:96
	ds_load_b128 v[5:8], v0 offset:112
	s_waitcnt lgkmcnt(1)
	v_add_f64 v[1:2], v[1:2], v[9:10]
	s_delay_alu instid0(VALU_DEP_1) | instskip(SKIP_1) | instid1(VALU_DEP_1)
	v_add_f64 v[1:2], v[3:4], v[1:2]
	s_waitcnt lgkmcnt(0)
	v_add_f64 v[1:2], v[5:6], v[1:2]
	s_delay_alu instid0(VALU_DEP_1) | instskip(SKIP_4) | instid1(VALU_DEP_1)
	v_add_f64 v[9:10], v[7:8], v[1:2]
	ds_load_b128 v[1:4], v0 offset:128
	ds_load_b128 v[5:8], v0 offset:144
	;; [unrolled: 19-line block ×7, first 2 shown]
	s_waitcnt lgkmcnt(1)
	v_add_f64 v[1:2], v[1:2], v[9:10]
	v_add_f64 v[1:2], v[3:4], v[1:2]
	s_waitcnt lgkmcnt(0)
	s_delay_alu instid0(VALU_DEP_1) | instskip(NEXT) | instid1(VALU_DEP_1)
	v_add_f64 v[1:2], v[5:6], v[1:2]
	v_add_f64 v[9:10], v[7:8], v[1:2]
	ds_load_b128 v[1:4], v0 offset:480
	ds_load_b128 v[5:8], v0 offset:496
	s_waitcnt lgkmcnt(1)
	v_add_f64 v[1:2], v[1:2], v[9:10]
	s_delay_alu instid0(VALU_DEP_1) | instskip(SKIP_1) | instid1(VALU_DEP_1)
	v_add_f64 v[1:2], v[3:4], v[1:2]
	s_waitcnt lgkmcnt(0)
	v_add_f64 v[1:2], v[5:6], v[1:2]
	s_delay_alu instid0(VALU_DEP_1)
	v_add_f64 v[1:2], v[7:8], v[1:2]
	global_store_b64 v0, v[1:2], s[0:1]
.LBB2_12:
	s_nop 0
	s_sendmsg sendmsg(MSG_DEALLOC_VGPRS)
	s_endpgm
	.section	.rodata,"a",@progbits
	.p2align	6, 0x0
	.amdhsa_kernel _Z13cuda_mat_K_PIPKdPKiiS0_PdS0_
		.amdhsa_group_segment_fixed_size 512
		.amdhsa_private_segment_fixed_size 240
		.amdhsa_kernarg_size 48
		.amdhsa_user_sgpr_count 14
		.amdhsa_user_sgpr_dispatch_ptr 0
		.amdhsa_user_sgpr_queue_ptr 0
		.amdhsa_user_sgpr_kernarg_segment_ptr 1
		.amdhsa_user_sgpr_dispatch_id 0
		.amdhsa_user_sgpr_private_segment_size 0
		.amdhsa_wavefront_size32 1
		.amdhsa_uses_dynamic_stack 0
		.amdhsa_enable_private_segment 1
		.amdhsa_system_sgpr_workgroup_id_x 1
		.amdhsa_system_sgpr_workgroup_id_y 1
		.amdhsa_system_sgpr_workgroup_id_z 0
		.amdhsa_system_sgpr_workgroup_info 0
		.amdhsa_system_vgpr_workitem_id 1
		.amdhsa_next_free_vgpr 152
		.amdhsa_next_free_sgpr 79
		.amdhsa_reserve_vcc 1
		.amdhsa_float_round_mode_32 0
		.amdhsa_float_round_mode_16_64 0
		.amdhsa_float_denorm_mode_32 3
		.amdhsa_float_denorm_mode_16_64 3
		.amdhsa_dx10_clamp 1
		.amdhsa_ieee_mode 1
		.amdhsa_fp16_overflow 0
		.amdhsa_workgroup_processor_mode 1
		.amdhsa_memory_ordered 1
		.amdhsa_forward_progress 0
		.amdhsa_shared_vgpr_count 0
		.amdhsa_exception_fp_ieee_invalid_op 0
		.amdhsa_exception_fp_denorm_src 0
		.amdhsa_exception_fp_ieee_div_zero 0
		.amdhsa_exception_fp_ieee_overflow 0
		.amdhsa_exception_fp_ieee_underflow 0
		.amdhsa_exception_fp_ieee_inexact 0
		.amdhsa_exception_int_div_zero 0
	.end_amdhsa_kernel
	.text
.Lfunc_end2:
	.size	_Z13cuda_mat_K_PIPKdPKiiS0_PdS0_, .Lfunc_end2-_Z13cuda_mat_K_PIPKdPKiiS0_PdS0_
                                        ; -- End function
	.section	.AMDGPU.csdata,"",@progbits
; Kernel info:
; codeLenInByte = 2036
; NumSgprs: 81
; NumVgprs: 152
; ScratchSize: 240
; MemoryBound: 0
; FloatMode: 240
; IeeeMode: 1
; LDSByteSize: 512 bytes/workgroup (compile time only)
; SGPRBlocks: 10
; VGPRBlocks: 18
; NumSGPRsForWavesPerEU: 81
; NumVGPRsForWavesPerEU: 152
; Occupancy: 9
; WaveLimiterHint : 0
; COMPUTE_PGM_RSRC2:SCRATCH_EN: 1
; COMPUTE_PGM_RSRC2:USER_SGPR: 14
; COMPUTE_PGM_RSRC2:TRAP_HANDLER: 0
; COMPUTE_PGM_RSRC2:TGID_X_EN: 1
; COMPUTE_PGM_RSRC2:TGID_Y_EN: 1
; COMPUTE_PGM_RSRC2:TGID_Z_EN: 0
; COMPUTE_PGM_RSRC2:TIDIG_COMP_CNT: 1
	.text
	.p2alignl 7, 3214868480
	.fill 96, 4, 3214868480
	.type	__hip_cuid_7a50d9bb14b0335d,@object ; @__hip_cuid_7a50d9bb14b0335d
	.section	.bss,"aw",@nobits
	.globl	__hip_cuid_7a50d9bb14b0335d
__hip_cuid_7a50d9bb14b0335d:
	.byte	0                               ; 0x0
	.size	__hip_cuid_7a50d9bb14b0335d, 1

	.ident	"AMD clang version 19.0.0git (https://github.com/RadeonOpenCompute/llvm-project roc-6.4.0 25133 c7fe45cf4b819c5991fe208aaa96edf142730f1d)"
	.section	".note.GNU-stack","",@progbits
	.addrsig
	.addrsig_sym __hip_cuid_7a50d9bb14b0335d
	.amdgpu_metadata
---
amdhsa.kernels:
  - .args:
      - .actual_access:  read_only
        .address_space:  global
        .offset:         0
        .size:           8
        .value_kind:     global_buffer
      - .actual_access:  read_only
        .address_space:  global
        .offset:         8
        .size:           8
        .value_kind:     global_buffer
      - .offset:         16
        .size:           4
        .value_kind:     by_value
      - .actual_access:  read_only
        .address_space:  global
        .offset:         24
        .size:           8
        .value_kind:     global_buffer
      - .actual_access:  write_only
        .address_space:  global
        .offset:         32
        .size:           8
        .value_kind:     global_buffer
      - .actual_access:  read_only
        .address_space:  global
        .offset:         40
        .size:           8
        .value_kind:     global_buffer
    .group_segment_fixed_size: 512
    .kernarg_segment_align: 8
    .kernarg_segment_size: 48
    .language:       OpenCL C
    .language_version:
      - 2
      - 0
    .max_flat_workgroup_size: 1024
    .name:           _Z13cuda_mat_J_PIPKdPKiiS0_PdS0_
    .private_segment_fixed_size: 240
    .sgpr_count:     82
    .sgpr_spill_count: 0
    .symbol:         _Z13cuda_mat_J_PIPKdPKiiS0_PdS0_.kd
    .uniform_work_group_size: 1
    .uses_dynamic_stack: false
    .vgpr_count:     152
    .vgpr_spill_count: 0
    .wavefront_size: 32
    .workgroup_processor_mode: 1
  - .args:
      - .actual_access:  read_only
        .address_space:  global
        .offset:         0
        .size:           8
        .value_kind:     global_buffer
      - .actual_access:  read_only
        .address_space:  global
        .offset:         8
        .size:           8
        .value_kind:     global_buffer
      - .offset:         16
        .size:           4
        .value_kind:     by_value
      - .actual_access:  read_only
        .address_space:  global
        .offset:         24
        .size:           8
        .value_kind:     global_buffer
      - .actual_access:  write_only
        .address_space:  global
        .offset:         32
        .size:           8
        .value_kind:     global_buffer
      - .actual_access:  read_only
        .address_space:  global
        .offset:         40
        .size:           8
        .value_kind:     global_buffer
    .group_segment_fixed_size: 512
    .kernarg_segment_align: 8
    .kernarg_segment_size: 48
    .language:       OpenCL C
    .language_version:
      - 2
      - 0
    .max_flat_workgroup_size: 1024
    .name:           _Z13cuda_mat_K_PIPKdPKiiS0_PdS0_
    .private_segment_fixed_size: 240
    .sgpr_count:     81
    .sgpr_spill_count: 0
    .symbol:         _Z13cuda_mat_K_PIPKdPKiiS0_PdS0_.kd
    .uniform_work_group_size: 1
    .uses_dynamic_stack: false
    .vgpr_count:     152
    .vgpr_spill_count: 0
    .wavefront_size: 32
    .workgroup_processor_mode: 1
amdhsa.target:   amdgcn-amd-amdhsa--gfx1100
amdhsa.version:
  - 1
  - 2
...

	.end_amdgpu_metadata
